;; amdgpu-corpus repo=ROCm/rocFFT kind=compiled arch=gfx1030 opt=O3
	.text
	.amdgcn_target "amdgcn-amd-amdhsa--gfx1030"
	.amdhsa_code_object_version 6
	.protected	bluestein_single_fwd_len1815_dim1_dp_op_CI_CI ; -- Begin function bluestein_single_fwd_len1815_dim1_dp_op_CI_CI
	.globl	bluestein_single_fwd_len1815_dim1_dp_op_CI_CI
	.p2align	8
	.type	bluestein_single_fwd_len1815_dim1_dp_op_CI_CI,@function
bluestein_single_fwd_len1815_dim1_dp_op_CI_CI: ; @bluestein_single_fwd_len1815_dim1_dp_op_CI_CI
; %bb.0:
	s_load_dwordx4 s[12:15], s[4:5], 0x28
	v_mul_u32_u24_e32 v1, 0x18e, v0
	s_mov_b64 s[42:43], s[2:3]
	s_mov_b64 s[40:41], s[0:1]
	v_mov_b32_e32 v14, 0
	s_add_u32 s40, s40, s7
	v_lshrrev_b32_e32 v1, 16, v1
	s_addc_u32 s41, s41, 0
	s_mov_b32 s0, exec_lo
	v_add_nc_u32_e32 v13, s6, v1
	s_waitcnt lgkmcnt(0)
	v_cmpx_gt_u64_e64 s[12:13], v[13:14]
	s_cbranch_execz .LBB0_18
; %bb.1:
	s_clause 0x1
	s_load_dwordx4 s[8:11], s[4:5], 0x18
	s_load_dwordx4 s[0:3], s[4:5], 0x0
	v_mul_lo_u16 v1, 0xa5, v1
	v_mov_b32_e32 v19, v13
	s_mov_b32 s28, 0xf8bb580b
	s_mov_b32 s29, 0xbfe14ced
	;; [unrolled: 1-line block ×3, first 2 shown]
	v_sub_nc_u16 v0, v0, v1
	s_mov_b32 s20, 0xbb3a28a1
	s_mov_b32 s22, 0xfd768dbf
	;; [unrolled: 1-line block ×4, first 2 shown]
	v_and_b32_e32 v38, 0xffff, v0
	s_mov_b32 s12, 0xd9c712b6
	s_mov_b32 s35, 0x3fd207e7
	;; [unrolled: 1-line block ×4, first 2 shown]
	v_lshlrev_b32_e32 v14, 4, v38
	s_mov_b32 s34, s22
	s_mov_b32 s26, s28
	s_waitcnt lgkmcnt(0)
	s_load_dwordx4 s[16:19], s[8:9], 0x0
	s_mov_b32 s13, 0x3fda9628
	v_add_co_u32 v255, s6, s0, v14
	v_add_co_ci_u32_e64 v224, null, s1, 0, s6
	global_load_dwordx4 v[31:34], v14, s[0:1]
	v_add_co_u32 v1, vcc_lo, 0x800, v255
	v_add_co_ci_u32_e32 v2, vcc_lo, 0, v224, vcc_lo
	v_add_co_u32 v3, vcc_lo, 0x1000, v255
	v_add_co_ci_u32_e32 v4, vcc_lo, 0, v224, vcc_lo
	;; [unrolled: 2-line block ×3, first 2 shown]
	v_add_co_u32 v9, vcc_lo, 0x2800, v255
	s_waitcnt lgkmcnt(0)
	v_mad_u64_u32 v[7:8], null, s18, v13, 0
	v_mad_u64_u32 v[15:16], null, s16, v38, 0
	buffer_store_dword v19, off, s[40:43], 0 offset:48 ; 4-byte Folded Spill
	buffer_store_dword v20, off, s[40:43], 0 offset:52 ; 4-byte Folded Spill
	v_add_co_ci_u32_e32 v10, vcc_lo, 0, v224, vcc_lo
	v_add_co_u32 v11, vcc_lo, 0x3000, v255
	v_mad_u64_u32 v[19:20], null, s19, v13, v[8:9]
	v_mov_b32_e32 v8, v16
	v_add_co_ci_u32_e32 v12, vcc_lo, 0, v224, vcc_lo
	v_add_co_u32 v17, vcc_lo, 0x3800, v255
	v_mad_u64_u32 v[22:23], null, s17, v38, v[8:9]
	v_mov_b32_e32 v8, v19
	v_add_co_ci_u32_e32 v18, vcc_lo, 0, v224, vcc_lo
	v_add_co_u32 v20, vcc_lo, 0x4800, v255
	s_clause 0x1
	global_load_dwordx4 v[136:139], v[1:2], off offset:592
	global_load_dwordx4 v[132:135], v[3:4], off offset:1184
	v_mov_b32_e32 v16, v22
	v_lshlrev_b64 v[1:2], 4, v[7:8]
	v_add_co_ci_u32_e32 v21, vcc_lo, 0, v224, vcc_lo
	v_add_co_u32 v23, vcc_lo, 0x5000, v255
	v_add_co_ci_u32_e32 v24, vcc_lo, 0, v224, vcc_lo
	v_lshlrev_b64 v[3:4], 4, v[15:16]
	v_add_co_u32 v1, vcc_lo, s14, v1
	v_add_co_ci_u32_e32 v2, vcc_lo, s15, v2, vcc_lo
	s_mul_i32 s0, s17, 0xa50
	v_add_co_u32 v1, vcc_lo, v1, v3
	v_add_co_ci_u32_e32 v2, vcc_lo, v2, v4, vcc_lo
	s_mul_hi_u32 s1, s16, 0xa50
	s_mul_i32 s6, s16, 0xa50
	s_clause 0x1
	global_load_dwordx4 v[112:115], v[5:6], off offset:1776
	global_load_dwordx4 v[116:119], v[9:10], off offset:320
	s_add_i32 s1, s1, s0
	v_add_co_u32 v5, vcc_lo, v1, s6
	v_add_co_ci_u32_e32 v6, vcc_lo, s1, v2, vcc_lo
	global_load_dwordx4 v[39:42], v[20:21], off offset:48
	v_add_co_u32 v9, vcc_lo, v5, s6
	v_add_co_ci_u32_e32 v10, vcc_lo, s1, v6, vcc_lo
	s_clause 0x1
	global_load_dwordx4 v[108:111], v[11:12], off offset:912
	global_load_dwordx4 v[104:107], v[17:18], off offset:1504
	v_add_co_u32 v15, vcc_lo, v9, s6
	v_add_co_ci_u32_e32 v16, vcc_lo, s1, v10, vcc_lo
	s_clause 0x1
	global_load_dwordx4 v[1:4], v[1:2], off
	global_load_dwordx4 v[5:8], v[5:6], off
	v_add_co_u32 v25, vcc_lo, v15, s6
	v_add_co_ci_u32_e32 v26, vcc_lo, s1, v16, vcc_lo
	s_clause 0x1
	global_load_dwordx4 v[9:12], v[9:10], off
	global_load_dwordx4 v[15:18], v[15:16], off
	v_add_co_u32 v19, vcc_lo, v25, s6
	v_add_co_ci_u32_e32 v20, vcc_lo, s1, v26, vcc_lo
	s_mov_b32 s16, 0x43842ef
	v_add_co_u32 v21, vcc_lo, v19, s6
	v_add_co_ci_u32_e32 v22, vcc_lo, s1, v20, vcc_lo
	s_mov_b32 s17, 0xbfefac9e
	;; [unrolled: 3-line block ×3, first 2 shown]
	v_add_co_u32 v29, vcc_lo, v27, s6
	v_add_co_ci_u32_e32 v30, vcc_lo, s1, v28, vcc_lo
	global_load_dwordx4 v[44:47], v[25:26], off
	global_load_dwordx4 v[48:51], v[19:20], off
	;; [unrolled: 1-line block ×5, first 2 shown]
	v_add_co_u32 v19, vcc_lo, v29, s6
	v_add_co_ci_u32_e32 v20, vcc_lo, s1, v30, vcc_lo
	v_add_co_u32 v21, vcc_lo, 0x5800, v255
	v_add_co_ci_u32_e32 v22, vcc_lo, 0, v224, vcc_lo
	;; [unrolled: 2-line block ×4, first 2 shown]
	global_load_dwordx4 v[120:123], v[23:24], off offset:640
	global_load_dwordx4 v[64:67], v[19:20], off
	s_clause 0x1
	global_load_dwordx4 v[124:127], v[21:22], off offset:1232
	global_load_dwordx4 v[128:131], v[25:26], off offset:1824
	global_load_dwordx4 v[68:71], v[27:28], off
	s_mov_b32 s6, 0x8eee2c13
	s_mov_b32 s0, 0x8764f0ba
	;; [unrolled: 1-line block ×9, first 2 shown]
	s_load_dwordx2 s[4:5], s[4:5], 0x38
	s_waitcnt vmcnt(13)
	v_mul_f64 v[19:20], v[3:4], v[33:34]
	s_waitcnt vmcnt(12)
	v_mul_f64 v[23:24], v[7:8], v[138:139]
	v_mul_f64 v[21:22], v[1:2], v[33:34]
	;; [unrolled: 1-line block ×3, first 2 shown]
	s_waitcnt vmcnt(11)
	v_mul_f64 v[27:28], v[11:12], v[134:135]
	s_waitcnt vmcnt(10)
	v_mul_f64 v[72:73], v[17:18], v[114:115]
	v_mul_f64 v[29:30], v[9:10], v[134:135]
	;; [unrolled: 1-line block ×3, first 2 shown]
	v_fma_f64 v[1:2], v[1:2], v[31:32], v[19:20]
	s_waitcnt vmcnt(9)
	v_mul_f64 v[76:77], v[46:47], v[118:119]
	s_waitcnt vmcnt(8)
	v_mul_f64 v[80:81], v[50:51], v[110:111]
	;; [unrolled: 2-line block ×4, first 2 shown]
	buffer_store_dword v31, off, s[40:43], 0 offset:60 ; 4-byte Folded Spill
	buffer_store_dword v32, off, s[40:43], 0 offset:64 ; 4-byte Folded Spill
	buffer_store_dword v33, off, s[40:43], 0 offset:68 ; 4-byte Folded Spill
	buffer_store_dword v34, off, s[40:43], 0 offset:72 ; 4-byte Folded Spill
	v_fma_f64 v[5:6], v[5:6], v[136:137], v[23:24]
	buffer_store_dword v136, off, s[40:43], 0 offset:220 ; 4-byte Folded Spill
	buffer_store_dword v137, off, s[40:43], 0 offset:224 ; 4-byte Folded Spill
	buffer_store_dword v138, off, s[40:43], 0 offset:228 ; 4-byte Folded Spill
	buffer_store_dword v139, off, s[40:43], 0 offset:232 ; 4-byte Folded Spill
	v_fma_f64 v[9:10], v[9:10], v[132:133], v[27:28]
	;; [unrolled: 5-line block ×3, first 2 shown]
	buffer_store_dword v112, off, s[40:43], 0 offset:124 ; 4-byte Folded Spill
	buffer_store_dword v113, off, s[40:43], 0 offset:128 ; 4-byte Folded Spill
	;; [unrolled: 1-line block ×4, first 2 shown]
	v_mul_f64 v[78:79], v[44:45], v[118:119]
	v_mul_f64 v[82:83], v[48:49], v[110:111]
	;; [unrolled: 1-line block ×4, first 2 shown]
	s_waitcnt vmcnt(4)
	v_mul_f64 v[92:93], v[62:63], v[122:123]
	v_mul_f64 v[94:95], v[60:61], v[122:123]
	s_waitcnt vmcnt(2)
	v_mul_f64 v[96:97], v[66:67], v[126:127]
	v_mul_f64 v[98:99], v[64:65], v[126:127]
	s_waitcnt vmcnt(0)
	v_mul_f64 v[100:101], v[70:71], v[130:131]
	v_fma_f64 v[44:45], v[44:45], v[116:117], v[76:77]
	buffer_store_dword v116, off, s[40:43], 0 offset:140 ; 4-byte Folded Spill
	buffer_store_dword v117, off, s[40:43], 0 offset:144 ; 4-byte Folded Spill
	buffer_store_dword v118, off, s[40:43], 0 offset:148 ; 4-byte Folded Spill
	buffer_store_dword v119, off, s[40:43], 0 offset:152 ; 4-byte Folded Spill
	v_fma_f64 v[48:49], v[48:49], v[108:109], v[80:81]
	buffer_store_dword v108, off, s[40:43], 0 offset:108 ; 4-byte Folded Spill
	buffer_store_dword v109, off, s[40:43], 0 offset:112 ; 4-byte Folded Spill
	buffer_store_dword v110, off, s[40:43], 0 offset:116 ; 4-byte Folded Spill
	buffer_store_dword v111, off, s[40:43], 0 offset:120 ; 4-byte Folded Spill
	;; [unrolled: 5-line block ×4, first 2 shown]
	v_mul_f64 v[102:103], v[68:69], v[130:131]
	v_fma_f64 v[60:61], v[60:61], v[120:121], v[92:93]
	buffer_store_dword v120, off, s[40:43], 0 offset:156 ; 4-byte Folded Spill
	buffer_store_dword v121, off, s[40:43], 0 offset:160 ; 4-byte Folded Spill
	buffer_store_dword v122, off, s[40:43], 0 offset:164 ; 4-byte Folded Spill
	buffer_store_dword v123, off, s[40:43], 0 offset:168 ; 4-byte Folded Spill
	v_fma_f64 v[64:65], v[64:65], v[124:125], v[96:97]
	buffer_store_dword v124, off, s[40:43], 0 offset:172 ; 4-byte Folded Spill
	buffer_store_dword v125, off, s[40:43], 0 offset:176 ; 4-byte Folded Spill
	buffer_store_dword v126, off, s[40:43], 0 offset:180 ; 4-byte Folded Spill
	buffer_store_dword v127, off, s[40:43], 0 offset:184 ; 4-byte Folded Spill
	;; [unrolled: 5-line block ×3, first 2 shown]
	s_load_dwordx4 s[8:11], s[10:11], 0x0
	v_fma_f64 v[3:4], v[3:4], v[31:32], -v[21:22]
	v_fma_f64 v[7:8], v[7:8], v[136:137], -v[25:26]
	;; [unrolled: 1-line block ×11, first 2 shown]
	ds_write_b128 v14, v[1:4]
	ds_write_b128 v14, v[5:8] offset:2640
	ds_write_b128 v14, v[9:12] offset:5280
	;; [unrolled: 1-line block ×10, first 2 shown]
	s_waitcnt lgkmcnt(0)
	s_waitcnt_vscnt null, 0x0
	s_barrier
	buffer_gl0_inv
	ds_read_b128 v[60:63], v14
	ds_read_b128 v[1:4], v14 offset:2640
	ds_read_b128 v[44:47], v14 offset:26400
	;; [unrolled: 1-line block ×10, first 2 shown]
	s_waitcnt lgkmcnt(0)
	s_barrier
	buffer_gl0_inv
	v_add_f64 v[19:20], v[60:61], v[1:2]
	v_add_f64 v[21:22], v[62:63], v[3:4]
	;; [unrolled: 1-line block ×4, first 2 shown]
	v_add_f64 v[72:73], v[5:6], -v[48:49]
	v_add_f64 v[74:75], v[7:8], -v[50:51]
	;; [unrolled: 1-line block ×4, first 2 shown]
	v_add_f64 v[1:2], v[1:2], v[44:45]
	v_add_f64 v[3:4], v[3:4], v[46:47]
	v_add_f64 v[80:81], v[9:10], -v[52:53]
	v_add_f64 v[82:83], v[11:12], -v[54:55]
	;; [unrolled: 1-line block ×5, first 2 shown]
	v_add_f64 v[76:77], v[9:10], v[52:53]
	v_add_f64 v[78:79], v[11:12], v[54:55]
	;; [unrolled: 1-line block ×5, first 2 shown]
	v_add_f64 v[96:97], v[68:69], -v[64:65]
	v_add_f64 v[94:95], v[70:71], v[66:67]
	v_add_f64 v[5:6], v[19:20], v[5:6]
	;; [unrolled: 1-line block ×3, first 2 shown]
	v_mul_f64 v[114:115], v[72:73], s[6:7]
	v_mul_f64 v[112:113], v[74:75], s[6:7]
	;; [unrolled: 1-line block ×16, first 2 shown]
	s_mov_b32 s7, 0x3fed1bb4
	v_mul_f64 v[122:123], v[72:73], s[20:21]
	v_add_f64 v[5:6], v[5:6], v[9:10]
	v_add_f64 v[7:8], v[7:8], v[11:12]
	v_mul_f64 v[124:125], v[72:73], s[34:35]
	v_mul_f64 v[126:127], v[72:73], s[30:31]
	;; [unrolled: 1-line block ×4, first 2 shown]
	v_fma_f64 v[9:10], v[1:2], s[0:1], -v[19:20]
	v_fma_f64 v[11:12], v[3:4], s[0:1], v[21:22]
	v_fma_f64 v[168:169], v[1:2], s[12:13], -v[100:101]
	v_fma_f64 v[170:171], v[3:4], s[12:13], v[102:103]
	v_mul_f64 v[130:131], v[82:83], s[34:35]
	v_mul_f64 v[132:133], v[82:83], s[28:29]
	;; [unrolled: 1-line block ×12, first 2 shown]
	v_add_f64 v[5:6], v[5:6], v[15:16]
	v_add_f64 v[7:8], v[7:8], v[17:18]
	v_mul_f64 v[154:155], v[88:89], s[30:31]
	v_mul_f64 v[156:157], v[88:89], s[28:29]
	;; [unrolled: 1-line block ×12, first 2 shown]
	v_fma_f64 v[19:20], v[1:2], s[0:1], v[19:20]
	v_fma_f64 v[21:22], v[3:4], s[0:1], -v[21:22]
	v_fma_f64 v[100:101], v[1:2], s[12:13], v[100:101]
	v_fma_f64 v[102:103], v[3:4], s[12:13], -v[102:103]
	v_fma_f64 v[172:173], v[1:2], s[14:15], -v[104:105]
	v_fma_f64 v[174:175], v[3:4], s[14:15], v[106:107]
	v_fma_f64 v[104:105], v[1:2], s[14:15], v[104:105]
	v_fma_f64 v[106:107], v[3:4], s[14:15], -v[106:107]
	v_fma_f64 v[176:177], v[1:2], s[18:19], -v[108:109]
	v_fma_f64 v[178:179], v[3:4], s[18:19], v[110:111]
	;; [unrolled: 4-line block ×3, first 2 shown]
	v_fma_f64 v[23:24], v[3:4], s[24:25], v[25:26]
	v_fma_f64 v[3:4], v[3:4], s[24:25], -v[25:26]
	v_add_f64 v[5:6], v[5:6], v[68:69]
	v_add_f64 v[7:8], v[7:8], v[70:71]
	v_fma_f64 v[25:26], v[27:28], s[12:13], -v[112:113]
	v_fma_f64 v[112:113], v[27:28], s[12:13], v[112:113]
	v_fma_f64 v[182:183], v[27:28], s[18:19], -v[116:117]
	v_fma_f64 v[116:117], v[27:28], s[18:19], v[116:117]
	;; [unrolled: 2-line block ×5, first 2 shown]
	v_fma_f64 v[74:75], v[29:30], s[12:13], v[114:115]
	v_add_f64 v[9:10], v[60:61], v[9:10]
	v_add_f64 v[11:12], v[62:63], v[11:12]
	v_fma_f64 v[190:191], v[29:30], s[18:19], v[122:123]
	v_add_f64 v[168:169], v[60:61], v[168:169]
	v_add_f64 v[170:171], v[62:63], v[170:171]
	v_fma_f64 v[114:115], v[29:30], s[12:13], -v[114:115]
	v_fma_f64 v[122:123], v[29:30], s[18:19], -v[122:123]
	v_fma_f64 v[192:193], v[29:30], s[24:25], v[124:125]
	v_fma_f64 v[124:125], v[29:30], s[24:25], -v[124:125]
	v_fma_f64 v[194:195], v[29:30], s[14:15], v[126:127]
	;; [unrolled: 2-line block ×3, first 2 shown]
	v_fma_f64 v[29:30], v[29:30], s[0:1], -v[72:73]
	v_fma_f64 v[72:73], v[76:77], s[14:15], -v[128:129]
	v_fma_f64 v[128:129], v[76:77], s[14:15], v[128:129]
	v_fma_f64 v[198:199], v[76:77], s[24:25], -v[130:131]
	v_fma_f64 v[130:131], v[76:77], s[24:25], v[130:131]
	;; [unrolled: 2-line block ×4, first 2 shown]
	v_fma_f64 v[200:201], v[78:79], s[14:15], v[136:137]
	v_fma_f64 v[136:137], v[78:79], s[14:15], -v[136:137]
	v_fma_f64 v[202:203], v[78:79], s[24:25], v[138:139]
	v_fma_f64 v[138:139], v[78:79], s[24:25], -v[138:139]
	;; [unrolled: 2-line block ×4, first 2 shown]
	v_fma_f64 v[208:209], v[84:85], s[18:19], -v[144:145]
	v_fma_f64 v[144:145], v[84:85], s[18:19], v[144:145]
	v_fma_f64 v[210:211], v[84:85], s[14:15], -v[146:147]
	v_fma_f64 v[146:147], v[84:85], s[14:15], v[146:147]
	;; [unrolled: 2-line block ×4, first 2 shown]
	v_fma_f64 v[68:69], v[86:87], s[18:19], v[152:153]
	v_fma_f64 v[70:71], v[86:87], s[18:19], -v[152:153]
	v_fma_f64 v[152:153], v[86:87], s[14:15], v[154:155]
	v_fma_f64 v[154:155], v[86:87], s[14:15], -v[154:155]
	v_add_f64 v[19:20], v[60:61], v[19:20]
	v_add_f64 v[21:22], v[62:63], v[21:22]
	v_add_f64 v[100:101], v[60:61], v[100:101]
	v_add_f64 v[102:103], v[62:63], v[102:103]
	v_add_f64 v[172:173], v[60:61], v[172:173]
	v_add_f64 v[174:175], v[62:63], v[174:175]
	v_add_f64 v[104:105], v[60:61], v[104:105]
	v_add_f64 v[106:107], v[62:63], v[106:107]
	v_add_f64 v[176:177], v[60:61], v[176:177]
	v_add_f64 v[178:179], v[62:63], v[178:179]
	v_add_f64 v[108:109], v[60:61], v[108:109]
	v_add_f64 v[110:111], v[62:63], v[110:111]
	v_add_f64 v[180:181], v[60:61], v[180:181]
	v_add_f64 v[23:24], v[62:63], v[23:24]
	v_add_f64 v[1:2], v[60:61], v[1:2]
	v_add_f64 v[3:4], v[62:63], v[3:4]
	v_fma_f64 v[60:61], v[86:87], s[0:1], v[156:157]
	v_fma_f64 v[62:63], v[86:87], s[0:1], -v[156:157]
	v_fma_f64 v[156:157], v[86:87], s[24:25], v[158:159]
	v_fma_f64 v[158:159], v[86:87], s[24:25], -v[158:159]
	v_add_f64 v[5:6], v[5:6], v[64:65]
	v_add_f64 v[7:8], v[7:8], v[66:67]
	v_fma_f64 v[64:65], v[92:93], s[24:25], -v[160:161]
	v_fma_f64 v[66:67], v[92:93], s[24:25], v[160:161]
	v_fma_f64 v[160:161], v[76:77], s[12:13], -v[82:83]
	v_fma_f64 v[76:77], v[76:77], s[12:13], v[82:83]
	v_fma_f64 v[82:83], v[78:79], s[12:13], v[80:81]
	v_fma_f64 v[78:79], v[78:79], s[12:13], -v[80:81]
	v_fma_f64 v[80:81], v[84:85], s[12:13], -v[90:91]
	v_fma_f64 v[84:85], v[84:85], s[12:13], v[90:91]
	v_fma_f64 v[90:91], v[86:87], s[12:13], v[88:89]
	v_fma_f64 v[86:87], v[86:87], s[12:13], -v[88:89]
	v_fma_f64 v[88:89], v[92:93], s[0:1], -v[162:163]
	v_fma_f64 v[162:163], v[92:93], s[0:1], v[162:163]
	v_fma_f64 v[216:217], v[92:93], s[18:19], -v[164:165]
	v_fma_f64 v[164:165], v[92:93], s[18:19], v[164:165]
	;; [unrolled: 2-line block ×4, first 2 shown]
	v_mul_f64 v[92:93], v[96:97], s[22:23]
	v_mul_f64 v[222:223], v[96:97], s[26:27]
	;; [unrolled: 1-line block ×5, first 2 shown]
	v_add_f64 v[9:10], v[25:26], v[9:10]
	v_add_f64 v[11:12], v[74:75], v[11:12]
	v_add_f64 v[25:26], v[182:183], v[168:169]
	v_add_f64 v[74:75], v[190:191], v[170:171]
	v_add_f64 v[19:20], v[112:113], v[19:20]
	v_add_f64 v[21:22], v[114:115], v[21:22]
	v_add_f64 v[112:113], v[186:187], v[176:177]
	v_add_f64 v[114:115], v[194:195], v[178:179]
	v_add_f64 v[23:24], v[196:197], v[23:24]
	v_add_f64 v[104:105], v[118:119], v[104:105]
	v_add_f64 v[1:2], v[27:28], v[1:2]
	v_add_f64 v[3:4], v[29:30], v[3:4]
	v_add_f64 v[108:109], v[120:121], v[108:109]
	v_add_f64 v[27:28], v[126:127], v[110:111]
	v_add_f64 v[29:30], v[124:125], v[106:107]
	v_add_f64 v[102:103], v[122:123], v[102:103]
	v_add_f64 v[5:6], v[5:6], v[56:57]
	v_fma_f64 v[229:230], v[94:95], s[24:25], v[92:93]
	v_fma_f64 v[231:232], v[94:95], s[24:25], -v[92:93]
	v_fma_f64 v[233:234], v[94:95], s[0:1], v[222:223]
	v_fma_f64 v[222:223], v[94:95], s[0:1], -v[222:223]
	;; [unrolled: 2-line block ×5, first 2 shown]
	v_add_f64 v[92:93], v[116:117], v[100:101]
	v_add_f64 v[94:95], v[184:185], v[172:173]
	;; [unrolled: 1-line block ×21, first 2 shown]
	v_cmp_gt_u16_e64 s0, 0x6e, v0
	v_add_f64 v[58:59], v[130:131], v[92:93]
	v_add_f64 v[72:73], v[160:161], v[94:95]
	v_add_f64 v[74:75], v[82:83], v[100:101]
	v_add_f64 v[82:83], v[204:205], v[114:115]
	v_add_f64 v[92:93], v[132:133], v[116:117]
	v_add_f64 v[7:8], v[7:8], v[54:55]
	v_add_f64 v[9:10], v[208:209], v[9:10]
	v_add_f64 v[11:12], v[68:69], v[11:12]
	v_add_f64 v[25:26], v[210:211], v[25:26]
	v_add_f64 v[52:53], v[152:153], v[56:57]
	v_add_f64 v[19:20], v[144:145], v[19:20]
	v_add_f64 v[21:22], v[70:71], v[21:22]
	v_add_f64 v[68:69], v[214:215], v[15:16]
	v_add_f64 v[23:24], v[90:91], v[23:24]
                                        ; implicit-def: $vgpr120_vgpr121
	v_add_f64 v[27:28], v[158:159], v[27:28]
	v_add_f64 v[29:30], v[62:63], v[29:30]
	;; [unrolled: 1-line block ×23, first 2 shown]
	v_mov_b32_e32 v10, 4
	v_mul_lo_u16 v9, v0, 11
	v_add_f64 v[48:49], v[162:163], v[54:55]
	v_add_f64 v[16:17], v[216:217], v[56:57]
	;; [unrolled: 1-line block ×13, first 2 shown]
	v_lshlrev_b32_sdwa v15, v10, v9 dst_sel:DWORD dst_unused:UNUSED_PAD src0_sel:DWORD src1_sel:WORD_0
	ds_write_b128 v15, v[1:4] offset:16
	ds_write_b128 v15, v[5:8] offset:32
	;; [unrolled: 1-line block ×10, first 2 shown]
	ds_write_b128 v15, v[44:47]
	s_waitcnt lgkmcnt(0)
	s_barrier
	buffer_gl0_inv
	ds_read_b128 v[52:55], v14
	ds_read_b128 v[56:59], v14 offset:2640
	ds_read_b128 v[96:99], v14 offset:19360
	;; [unrolled: 1-line block ×8, first 2 shown]
	s_and_saveexec_b32 s1, s0
	s_cbranch_execz .LBB0_3
; %bb.2:
	ds_read_b128 v[48:51], v14 offset:7920
	ds_read_b128 v[92:95], v14 offset:17600
	;; [unrolled: 1-line block ×3, first 2 shown]
.LBB0_3:
	s_or_b32 exec_lo, exec_lo, s1
	v_and_b32_e32 v0, 0xff, v38
	v_add_co_u32 v9, null, 0xa5, v38
	v_mov_b32_e32 v2, 0xba2f
	v_add_nc_u16 v8, v38, 0x14a
	v_mul_lo_u16 v0, 0x75, v0
	s_mov_b32 s6, 0xe8584caa
	s_mov_b32 s7, 0x3febb67a
	v_mul_u32_u24_sdwa v3, v9, v2 dst_sel:DWORD dst_unused:UNUSED_PAD src0_sel:WORD_0 src1_sel:DWORD
	v_mul_u32_u24_sdwa v4, v8, v2 dst_sel:DWORD dst_unused:UNUSED_PAD src0_sel:WORD_0 src1_sel:DWORD
	v_lshrrev_b16 v0, 8, v0
	s_mov_b32 s13, 0xbfebb67a
	s_mov_b32 s12, s6
	v_lshrrev_b32_e32 v13, 19, v3
	v_lshrrev_b32_e32 v32, 19, v4
	v_sub_nc_u16 v1, v38, v0
	v_mov_b32_e32 v37, 33
	v_mul_lo_u16 v3, v13, 11
	v_lshrrev_b16 v1, 1, v1
	v_sub_nc_u16 v34, v9, v3
	v_and_b32_e32 v1, 0x7f, v1
	v_add_nc_u16 v0, v1, v0
	v_add_nc_u16 v1, v38, 0x1ef
	v_lshrrev_b16 v33, 3, v0
	v_mul_lo_u16 v0, v32, 11
	v_mul_u32_u24_sdwa v2, v1, v2 dst_sel:DWORD dst_unused:UNUSED_PAD src0_sel:WORD_0 src1_sel:DWORD
	v_mul_lo_u16 v3, v33, 11
	v_sub_nc_u16 v35, v8, v0
	v_lshrrev_b32_e32 v4, 19, v2
	v_lshlrev_b16 v0, 1, v34
	v_sub_nc_u16 v2, v38, v3
	v_lshlrev_b16 v3, 1, v35
	buffer_store_dword v4, off, s[40:43], 0 offset:240 ; 4-byte Folded Spill
	v_mul_lo_u16 v4, v4, 11
	v_lshlrev_b32_sdwa v0, v10, v0 dst_sel:DWORD dst_unused:UNUSED_PAD src0_sel:DWORD src1_sel:WORD_0
	v_and_b32_e32 v36, 0xff, v2
	v_lshlrev_b32_sdwa v2, v10, v3 dst_sel:DWORD dst_unused:UNUSED_PAD src0_sel:DWORD src1_sel:WORD_0
	s_clause 0x1
	global_load_dwordx4 v[68:71], v0, s[2:3]
	global_load_dwordx4 v[64:67], v0, s[2:3] offset:16
	v_sub_nc_u16 v1, v1, v4
	v_lshlrev_b32_e32 v0, 5, v36
	s_clause 0x1
	global_load_dwordx4 v[60:63], v2, s[2:3] offset:16
	global_load_dwordx4 v[72:75], v2, s[2:3]
	buffer_store_dword v1, off, s[40:43], 0 offset:244 ; 4-byte Folded Spill
	v_lshlrev_b16 v1, 1, v1
	s_clause 0x1
	global_load_dwordx4 v[88:91], v0, s[2:3]
	global_load_dwordx4 v[84:87], v0, s[2:3] offset:16
	v_lshlrev_b32_sdwa v0, v10, v1 dst_sel:DWORD dst_unused:UNUSED_PAD src0_sel:DWORD src1_sel:WORD_0
	s_clause 0x1
	global_load_dwordx4 v[80:83], v0, s[2:3]
	global_load_dwordx4 v[76:79], v0, s[2:3] offset:16
	s_waitcnt vmcnt(0) lgkmcnt(0)
	s_waitcnt_vscnt null, 0x0
	s_barrier
	buffer_gl0_inv
	v_mul_f64 v[0:1], v[118:119], v[70:71]
	v_mul_f64 v[2:3], v[116:117], v[70:71]
	;; [unrolled: 1-line block ×16, first 2 shown]
	v_fma_f64 v[116:117], v[116:117], v[68:69], -v[0:1]
	v_fma_f64 v[118:119], v[118:119], v[68:69], v[2:3]
	v_fma_f64 v[112:113], v[112:113], v[64:65], -v[4:5]
	v_fma_f64 v[114:115], v[114:115], v[64:65], v[6:7]
	v_fma_f64 v[11:12], v[104:105], v[72:73], -v[11:12]
	v_fma_f64 v[104:105], v[108:109], v[60:61], -v[16:17]
	;; [unrolled: 1-line block ×4, first 2 shown]
	v_fma_f64 v[18:19], v[102:103], v[88:89], v[22:23]
	v_fma_f64 v[22:23], v[98:99], v[84:85], v[24:25]
	;; [unrolled: 1-line block ×4, first 2 shown]
	v_fma_f64 v[2:3], v[92:93], v[80:81], -v[30:31]
	v_fma_f64 v[0:1], v[120:121], v[76:77], -v[124:125]
	v_fma_f64 v[6:7], v[94:95], v[80:81], v[126:127]
	v_fma_f64 v[4:5], v[122:123], v[76:77], v[128:129]
	v_add_f64 v[102:103], v[56:57], v[116:117]
	v_add_f64 v[110:111], v[58:59], v[118:119]
	v_add_f64 v[28:29], v[116:117], v[112:113]
	v_add_f64 v[30:31], v[118:119], v[114:115]
	v_add_f64 v[108:109], v[118:119], -v[114:115]
	v_add_f64 v[92:93], v[11:12], v[104:105]
	v_add_f64 v[116:117], v[116:117], -v[112:113]
	v_add_f64 v[118:119], v[44:45], v[11:12]
	v_add_f64 v[124:125], v[52:53], v[16:17]
	;; [unrolled: 1-line block ×7, first 2 shown]
	v_add_f64 v[24:25], v[24:25], -v[26:27]
	v_add_f64 v[126:127], v[18:19], -v[22:23]
	;; [unrolled: 1-line block ×4, first 2 shown]
	v_add_f64 v[100:101], v[2:3], v[0:1]
	v_add_f64 v[140:141], v[2:3], -v[0:1]
	v_add_f64 v[106:107], v[6:7], v[4:5]
	v_add_f64 v[134:135], v[6:7], -v[4:5]
	v_add_f64 v[16:17], v[102:103], v[112:113]
	v_add_f64 v[18:19], v[110:111], v[114:115]
	v_fma_f64 v[28:29], v[28:29], -0.5, v[56:57]
	v_fma_f64 v[30:31], v[30:31], -0.5, v[58:59]
	;; [unrolled: 1-line block ×3, first 2 shown]
	v_add_f64 v[44:45], v[118:119], v[104:105]
	v_fma_f64 v[52:53], v[94:95], -0.5, v[52:53]
	v_add_f64 v[102:103], v[128:129], v[22:23]
	v_fma_f64 v[54:55], v[96:97], -0.5, v[54:55]
	v_fma_f64 v[132:133], v[98:99], -0.5, v[46:47]
	v_add_f64 v[46:47], v[120:121], v[26:27]
	v_fma_f64 v[138:139], v[100:101], -0.5, v[48:49]
	v_add_f64 v[100:101], v[124:125], v[20:21]
	v_fma_f64 v[142:143], v[106:107], -0.5, v[50:51]
	v_fma_f64 v[56:57], v[108:109], s[6:7], v[28:29]
	v_fma_f64 v[92:93], v[108:109], s[12:13], v[28:29]
	v_fma_f64 v[94:95], v[116:117], s[6:7], v[30:31]
	v_fma_f64 v[112:113], v[24:25], s[12:13], v[122:123]
	v_fma_f64 v[58:59], v[116:117], s[12:13], v[30:31]
	v_fma_f64 v[96:97], v[24:25], s[6:7], v[122:123]
	v_fma_f64 v[104:105], v[126:127], s[6:7], v[52:53]
	v_fma_f64 v[108:109], v[126:127], s[12:13], v[52:53]
	v_fma_f64 v[106:107], v[130:131], s[12:13], v[54:55]
	v_fma_f64 v[110:111], v[130:131], s[6:7], v[54:55]
	v_fma_f64 v[114:115], v[11:12], s[6:7], v[132:133]
	v_fma_f64 v[98:99], v[11:12], s[12:13], v[132:133]
	v_mad_u16 v11, v13, 33, v34
	v_mul_u32_u24_sdwa v12, v33, v37 dst_sel:DWORD dst_unused:UNUSED_PAD src0_sel:WORD_0 src1_sel:DWORD
	v_mad_u16 v13, v32, 33, v35
	v_fma_f64 v[136:137], v[134:135], s[6:7], v[138:139]
	v_fma_f64 v[52:53], v[134:135], s[12:13], v[138:139]
	;; [unrolled: 1-line block ×4, first 2 shown]
	v_lshlrev_b32_sdwa v11, v10, v11 dst_sel:DWORD dst_unused:UNUSED_PAD src0_sel:DWORD src1_sel:WORD_0
	v_add_lshl_u32 v12, v12, v36, 4
	v_lshlrev_b32_sdwa v10, v10, v13 dst_sel:DWORD dst_unused:UNUSED_PAD src0_sel:DWORD src1_sel:WORD_0
	ds_write_b128 v12, v[100:103]
	ds_write_b128 v12, v[104:107] offset:176
	buffer_store_dword v12, off, s[40:43], 0 offset:256 ; 4-byte Folded Spill
	ds_write_b128 v12, v[108:111] offset:352
	ds_write_b128 v11, v[16:19]
	ds_write_b128 v11, v[56:59] offset:176
	buffer_store_dword v11, off, s[40:43], 0 offset:252 ; 4-byte Folded Spill
	ds_write_b128 v11, v[92:95] offset:352
	;; [unrolled: 4-line block ×3, first 2 shown]
	s_and_saveexec_b32 s1, s0
	s_cbranch_execz .LBB0_5
; %bb.4:
	v_add_f64 v[6:7], v[50:51], v[6:7]
	v_add_f64 v[10:11], v[48:49], v[2:3]
	;; [unrolled: 1-line block ×3, first 2 shown]
	s_clause 0x1
	buffer_load_dword v4, off, s[40:43], 0 offset:240
	buffer_load_dword v5, off, s[40:43], 0 offset:244
	v_add_f64 v[0:1], v[10:11], v[0:1]
	s_waitcnt vmcnt(0)
	v_mad_u16 v4, v4, 33, v5
	v_mov_b32_e32 v5, 4
	v_lshlrev_b32_sdwa v4, v5, v4 dst_sel:DWORD dst_unused:UNUSED_PAD src0_sel:DWORD src1_sel:WORD_0
	ds_write_b128 v4, v[136:139] offset:176
	ds_write_b128 v4, v[0:3]
	ds_write_b128 v4, v[52:55] offset:352
.LBB0_5:
	s_or_b32 exec_lo, exec_lo, s1
	s_waitcnt lgkmcnt(0)
	s_waitcnt_vscnt null, 0x0
	s_barrier
	buffer_gl0_inv
	ds_read_b128 v[128:131], v14
	ds_read_b128 v[124:127], v14 offset:2640
	ds_read_b128 v[104:107], v14 offset:5808
	;; [unrolled: 1-line block ×9, first 2 shown]
	v_cmp_gt_u16_e32 vcc_lo, 33, v38
                                        ; implicit-def: $vgpr56_vgpr57
                                        ; implicit-def: $vgpr132_vgpr133
                                        ; implicit-def: $vgpr140_vgpr141
	s_and_saveexec_b32 s1, vcc_lo
	s_cbranch_execz .LBB0_7
; %bb.6:
	ds_read_b128 v[136:139], v14 offset:5280
	ds_read_b128 v[52:55], v14 offset:11088
	;; [unrolled: 1-line block ×5, first 2 shown]
.LBB0_7:
	s_or_b32 exec_lo, exec_lo, s1
	v_and_b32_e32 v0, 0xff, v38
	v_mov_b32_e32 v10, 0xf83f
	s_mov_b32 s16, 0x134454ff
	s_mov_b32 s17, 0x3fee6f0e
	;; [unrolled: 1-line block ×3, first 2 shown]
	v_mul_lo_u16 v0, 0xf9, v0
	s_mov_b32 s14, s16
	s_mov_b32 s6, 0x4755a5e
	s_mov_b32 s7, 0x3fe2cf23
	s_mov_b32 s13, 0xbfe2cf23
	v_lshrrev_b16 v0, 13, v0
	s_mov_b32 s12, s6
	s_mov_b32 s18, 0x372fe950
	;; [unrolled: 1-line block ×3, first 2 shown]
	v_mul_lo_u16 v1, v0, 33
	v_sub_nc_u16 v1, v38, v1
	v_and_b32_e32 v1, 0xff, v1
	v_lshlrev_b32_e32 v4, 6, v1
	s_clause 0x1
	global_load_dwordx4 v[92:95], v4, s[2:3] offset:352
	global_load_dwordx4 v[96:99], v4, s[2:3] offset:368
	s_waitcnt vmcnt(1) lgkmcnt(7)
	v_mul_f64 v[2:3], v[106:107], v[94:95]
	v_fma_f64 v[12:13], v[104:105], v[92:93], -v[2:3]
	v_mul_f64 v[2:3], v[104:105], v[94:95]
	v_fma_f64 v[16:17], v[106:107], v[92:93], v[2:3]
	s_waitcnt vmcnt(0) lgkmcnt(5)
	v_mul_f64 v[2:3], v[102:103], v[98:99]
	v_fma_f64 v[18:19], v[100:101], v[96:97], -v[2:3]
	v_mul_f64 v[2:3], v[100:101], v[98:99]
	v_fma_f64 v[20:21], v[102:103], v[96:97], v[2:3]
	s_clause 0x1
	global_load_dwordx4 v[100:103], v4, s[2:3] offset:384
	global_load_dwordx4 v[104:107], v4, s[2:3] offset:400
	s_waitcnt vmcnt(1) lgkmcnt(3)
	v_mul_f64 v[2:3], v[114:115], v[102:103]
	v_fma_f64 v[22:23], v[112:113], v[100:101], -v[2:3]
	v_mul_f64 v[2:3], v[112:113], v[102:103]
	v_add_f64 v[146:147], v[18:19], -v[22:23]
	v_fma_f64 v[24:25], v[114:115], v[100:101], v[2:3]
	s_waitcnt vmcnt(0) lgkmcnt(1)
	v_mul_f64 v[2:3], v[110:111], v[106:107]
	v_fma_f64 v[26:27], v[108:109], v[104:105], -v[2:3]
	v_mul_f64 v[2:3], v[108:109], v[106:107]
	v_add_f64 v[144:145], v[12:13], -v[26:27]
	v_fma_f64 v[28:29], v[110:111], v[104:105], v[2:3]
	v_mul_u32_u24_sdwa v2, v9, v10 dst_sel:DWORD dst_unused:UNUSED_PAD src0_sel:WORD_0 src1_sel:DWORD
	v_lshrrev_b32_e32 v2, 21, v2
	v_mul_lo_u16 v3, v2, 33
	v_sub_nc_u16 v3, v9, v3
	v_lshlrev_b16 v4, 6, v3
	v_and_b32_e32 v4, 0xffff, v4
	v_add_co_u32 v4, s1, s2, v4
	v_add_co_ci_u32_e64 v5, null, s3, 0, s1
	s_clause 0x1
	global_load_dwordx4 v[108:111], v[4:5], off offset:352
	global_load_dwordx4 v[112:115], v[4:5], off offset:368
	s_waitcnt vmcnt(1)
	v_mul_f64 v[6:7], v[122:123], v[110:111]
	v_fma_f64 v[30:31], v[120:121], v[108:109], -v[6:7]
	v_mul_f64 v[6:7], v[120:121], v[110:111]
	v_fma_f64 v[148:149], v[122:123], v[108:109], v[6:7]
	s_waitcnt vmcnt(0)
	v_mul_f64 v[6:7], v[118:119], v[114:115]
	v_fma_f64 v[150:151], v[116:117], v[112:113], -v[6:7]
	v_mul_f64 v[6:7], v[116:117], v[114:115]
	v_fma_f64 v[152:153], v[118:119], v[112:113], v[6:7]
	s_clause 0x1
	global_load_dwordx4 v[116:119], v[4:5], off offset:384
	global_load_dwordx4 v[120:123], v[4:5], off offset:400
	s_waitcnt vmcnt(1)
	v_mul_f64 v[4:5], v[50:51], v[118:119]
	v_fma_f64 v[154:155], v[48:49], v[116:117], -v[4:5]
	v_mul_f64 v[4:5], v[48:49], v[118:119]
	v_fma_f64 v[156:157], v[50:51], v[116:117], v[4:5]
	s_waitcnt vmcnt(0) lgkmcnt(0)
	v_mul_f64 v[4:5], v[46:47], v[122:123]
	v_fma_f64 v[158:159], v[44:45], v[120:121], -v[4:5]
	v_mul_f64 v[4:5], v[44:45], v[122:123]
	v_fma_f64 v[176:177], v[46:47], v[120:121], v[4:5]
	v_mul_u32_u24_sdwa v4, v8, v10 dst_sel:DWORD dst_unused:UNUSED_PAD src0_sel:WORD_0 src1_sel:DWORD
	v_lshrrev_b32_e32 v4, 21, v4
	v_mul_lo_u16 v4, v4, 33
	v_sub_nc_u16 v4, v8, v4
	buffer_store_dword v4, off, s[40:43], 0 offset:236 ; 4-byte Folded Spill
	v_lshlrev_b16 v4, 6, v4
	v_and_b32_e32 v4, 0xffff, v4
	v_add_co_u32 v4, s1, s2, v4
	v_add_co_ci_u32_e64 v5, null, s3, 0, s1
	s_clause 0x1
	global_load_dwordx4 v[8:11], v[4:5], off offset:352
	global_load_dwordx4 v[48:51], v[4:5], off offset:368
	s_waitcnt vmcnt(1)
	v_mul_f64 v[6:7], v[54:55], v[10:11]
	v_fma_f64 v[160:161], v[52:53], v[8:9], -v[6:7]
	v_mul_f64 v[6:7], v[52:53], v[10:11]
	buffer_store_dword v8, off, s[40:43], 0 offset:268 ; 4-byte Folded Spill
	buffer_store_dword v9, off, s[40:43], 0 offset:272 ; 4-byte Folded Spill
	;; [unrolled: 1-line block ×4, first 2 shown]
	v_fma_f64 v[166:167], v[54:55], v[8:9], v[6:7]
	s_waitcnt vmcnt(0)
	v_mul_f64 v[6:7], v[58:59], v[50:51]
	v_fma_f64 v[162:163], v[56:57], v[48:49], -v[6:7]
	v_mul_f64 v[6:7], v[56:57], v[50:51]
	v_fma_f64 v[164:165], v[58:59], v[48:49], v[6:7]
	s_clause 0x1
	global_load_dwordx4 v[52:55], v[4:5], off offset:384
	global_load_dwordx4 v[56:59], v[4:5], off offset:400
	v_add_f64 v[6:7], v[26:27], -v[22:23]
	s_waitcnt vmcnt(1)
	v_mul_f64 v[4:5], v[134:135], v[54:55]
	v_fma_f64 v[168:169], v[132:133], v[52:53], -v[4:5]
	v_mul_f64 v[4:5], v[132:133], v[54:55]
	v_fma_f64 v[172:173], v[134:135], v[52:53], v[4:5]
	s_waitcnt vmcnt(0)
	v_mul_f64 v[4:5], v[142:143], v[58:59]
	v_fma_f64 v[170:171], v[140:141], v[56:57], -v[4:5]
	v_mul_f64 v[4:5], v[140:141], v[58:59]
	v_add_f64 v[140:141], v[16:17], -v[28:29]
	v_fma_f64 v[174:175], v[142:143], v[56:57], v[4:5]
	v_add_f64 v[4:5], v[12:13], -v[18:19]
	v_add_f64 v[142:143], v[20:21], -v[24:25]
	v_add_f64 v[8:9], v[4:5], v[6:7]
	v_add_f64 v[4:5], v[16:17], -v[20:21]
	v_add_f64 v[6:7], v[28:29], -v[24:25]
	v_add_f64 v[10:11], v[4:5], v[6:7]
	v_add_f64 v[4:5], v[18:19], v[22:23]
	v_fma_f64 v[132:133], v[4:5], -0.5, v[128:129]
	v_add_f64 v[4:5], v[20:21], v[24:25]
	v_fma_f64 v[134:135], v[4:5], -0.5, v[130:131]
	v_fma_f64 v[4:5], v[140:141], s[16:17], v[132:133]
	v_fma_f64 v[132:133], v[140:141], s[14:15], v[132:133]
	;; [unrolled: 1-line block ×10, first 2 shown]
	v_add_f64 v[132:133], v[12:13], v[26:27]
	v_fma_f64 v[6:7], v[10:11], s[18:19], v[6:7]
	v_fma_f64 v[10:11], v[10:11], s[18:19], v[134:135]
	v_add_f64 v[134:135], v[16:17], v[28:29]
	v_fma_f64 v[132:133], v[132:133], -0.5, v[128:129]
	v_add_f64 v[128:129], v[128:129], v[12:13]
	v_add_f64 v[12:13], v[18:19], -v[12:13]
	v_fma_f64 v[134:135], v[134:135], -0.5, v[130:131]
	v_add_f64 v[130:131], v[130:131], v[16:17]
	v_add_f64 v[16:17], v[20:21], -v[16:17]
	v_add_f64 v[18:19], v[128:129], v[18:19]
	v_add_f64 v[128:129], v[130:131], v[20:21]
	;; [unrolled: 1-line block ×3, first 2 shown]
	v_add_f64 v[22:23], v[22:23], -v[26:27]
	v_add_f64 v[20:21], v[128:129], v[24:25]
	v_add_f64 v[128:129], v[150:151], -v[154:155]
	v_add_f64 v[180:181], v[18:19], v[26:27]
	v_add_f64 v[18:19], v[24:25], -v[28:29]
	v_fma_f64 v[24:25], v[142:143], s[16:17], v[132:133]
	v_fma_f64 v[26:27], v[146:147], s[16:17], v[134:135]
	v_add_f64 v[12:13], v[12:13], v[22:23]
	v_add_f64 v[182:183], v[20:21], v[28:29]
	v_fma_f64 v[20:21], v[142:143], s[14:15], v[132:133]
	v_fma_f64 v[28:29], v[146:147], s[14:15], v[134:135]
	v_add_f64 v[16:17], v[16:17], v[18:19]
	v_fma_f64 v[22:23], v[144:145], s[12:13], v[26:27]
	v_fma_f64 v[18:19], v[140:141], s[6:7], v[20:21]
	;; [unrolled: 1-line block ×4, first 2 shown]
	v_add_f64 v[28:29], v[30:31], -v[158:159]
	v_fma_f64 v[186:187], v[16:17], s[18:19], v[22:23]
	v_add_f64 v[22:23], v[148:149], -v[176:177]
	v_fma_f64 v[184:185], v[12:13], s[18:19], v[18:19]
	v_fma_f64 v[188:189], v[12:13], s[18:19], v[20:21]
	;; [unrolled: 1-line block ×3, first 2 shown]
	v_add_f64 v[12:13], v[30:31], -v[150:151]
	v_add_f64 v[16:17], v[158:159], -v[154:155]
	;; [unrolled: 1-line block ×3, first 2 shown]
	v_add_f64 v[20:21], v[152:153], v[156:157]
	v_add_f64 v[24:25], v[152:153], -v[156:157]
	v_add_f64 v[12:13], v[12:13], v[16:17]
	v_add_f64 v[16:17], v[148:149], -v[152:153]
	v_fma_f64 v[20:21], v[20:21], -0.5, v[126:127]
	v_add_f64 v[16:17], v[16:17], v[18:19]
	v_add_f64 v[18:19], v[150:151], v[154:155]
	v_fma_f64 v[130:131], v[28:29], s[14:15], v[20:21]
	v_fma_f64 v[20:21], v[28:29], s[16:17], v[20:21]
	v_fma_f64 v[18:19], v[18:19], -0.5, v[124:125]
	v_fma_f64 v[130:131], v[128:129], s[12:13], v[130:131]
	v_fma_f64 v[20:21], v[128:129], s[6:7], v[20:21]
	;; [unrolled: 1-line block ×5, first 2 shown]
	v_add_f64 v[20:21], v[126:127], v[148:149]
	v_fma_f64 v[146:147], v[16:17], s[18:19], v[130:131]
	v_add_f64 v[16:17], v[148:149], v[176:177]
	v_fma_f64 v[26:27], v[24:25], s[6:7], v[26:27]
	v_fma_f64 v[18:19], v[24:25], s[12:13], v[18:19]
	v_add_f64 v[20:21], v[20:21], v[152:153]
	v_fma_f64 v[16:17], v[16:17], -0.5, v[126:127]
	v_fma_f64 v[144:145], v[12:13], s[18:19], v[26:27]
	v_fma_f64 v[140:141], v[12:13], s[18:19], v[18:19]
	v_add_f64 v[18:19], v[124:125], v[30:31]
	v_add_f64 v[12:13], v[30:31], v[158:159]
	v_add_f64 v[20:21], v[20:21], v[156:157]
	v_add_f64 v[26:27], v[150:151], -v[30:31]
	v_add_f64 v[30:31], v[152:153], -v[148:149]
	v_add_f64 v[18:19], v[18:19], v[150:151]
	v_fma_f64 v[12:13], v[12:13], -0.5, v[124:125]
	v_add_f64 v[124:125], v[154:155], -v[158:159]
	v_add_f64 v[150:151], v[20:21], v[176:177]
	v_add_f64 v[18:19], v[18:19], v[154:155]
	v_fma_f64 v[20:21], v[24:25], s[14:15], v[12:13]
	v_fma_f64 v[12:13], v[24:25], s[16:17], v[12:13]
	v_fma_f64 v[24:25], v[128:129], s[16:17], v[16:17]
	v_fma_f64 v[16:17], v[128:129], s[14:15], v[16:17]
	v_add_f64 v[26:27], v[26:27], v[124:125]
	v_add_f64 v[148:149], v[18:19], v[158:159]
	v_add_f64 v[18:19], v[156:157], -v[176:177]
	v_fma_f64 v[12:13], v[22:23], s[12:13], v[12:13]
	v_fma_f64 v[20:21], v[22:23], s[6:7], v[20:21]
	;; [unrolled: 1-line block ×4, first 2 shown]
	v_add_f64 v[28:29], v[160:161], -v[170:171]
	v_add_f64 v[24:25], v[164:165], -v[172:173]
	v_add_f64 v[18:19], v[30:31], v[18:19]
	v_fma_f64 v[152:153], v[26:27], s[18:19], v[12:13]
	v_add_f64 v[12:13], v[160:161], -v[162:163]
	v_fma_f64 v[156:157], v[26:27], s[18:19], v[20:21]
	v_add_f64 v[20:21], v[164:165], v[172:173]
	v_add_f64 v[30:31], v[162:163], -v[168:169]
	v_fma_f64 v[154:155], v[18:19], s[18:19], v[16:17]
	v_add_f64 v[16:17], v[170:171], -v[168:169]
	v_fma_f64 v[158:159], v[18:19], s[18:19], v[22:23]
	v_add_f64 v[18:19], v[174:175], -v[172:173]
	v_fma_f64 v[20:21], v[20:21], -0.5, v[138:139]
	v_add_f64 v[22:23], v[166:167], -v[174:175]
	v_add_f64 v[12:13], v[12:13], v[16:17]
	v_add_f64 v[16:17], v[166:167], -v[164:165]
	v_fma_f64 v[124:125], v[28:29], s[14:15], v[20:21]
	v_fma_f64 v[20:21], v[28:29], s[16:17], v[20:21]
	v_add_f64 v[16:17], v[16:17], v[18:19]
	v_add_f64 v[18:19], v[162:163], v[168:169]
	v_fma_f64 v[124:125], v[30:31], s[12:13], v[124:125]
	v_fma_f64 v[20:21], v[30:31], s[6:7], v[20:21]
	v_fma_f64 v[18:19], v[18:19], -0.5, v[136:137]
	v_fma_f64 v[178:179], v[16:17], s[18:19], v[124:125]
	v_fma_f64 v[20:21], v[16:17], s[18:19], v[20:21]
	v_add_f64 v[16:17], v[168:169], -v[170:171]
	v_fma_f64 v[26:27], v[22:23], s[16:17], v[18:19]
	v_fma_f64 v[18:19], v[22:23], s[14:15], v[18:19]
	;; [unrolled: 1-line block ×6, first 2 shown]
	v_add_f64 v[12:13], v[162:163], -v[160:161]
	buffer_store_dword v18, off, s[40:43], 0 ; 4-byte Folded Spill
	buffer_store_dword v19, off, s[40:43], 0 offset:4 ; 4-byte Folded Spill
	buffer_store_dword v20, off, s[40:43], 0 offset:8 ; 4-byte Folded Spill
	;; [unrolled: 1-line block ×3, first 2 shown]
	v_add_f64 v[12:13], v[12:13], v[16:17]
	v_add_f64 v[16:17], v[160:161], v[170:171]
	;; [unrolled: 1-line block ×3, first 2 shown]
	v_add_f64 v[26:27], v[164:165], -v[166:167]
	v_fma_f64 v[16:17], v[16:17], -0.5, v[136:137]
	v_fma_f64 v[20:21], v[20:21], -0.5, v[138:139]
	v_fma_f64 v[18:19], v[24:25], s[14:15], v[16:17]
	v_fma_f64 v[16:17], v[24:25], s[16:17], v[16:17]
	;; [unrolled: 1-line block ×4, first 2 shown]
	v_add_f64 v[30:31], v[172:173], -v[174:175]
	v_fma_f64 v[18:19], v[22:23], s[6:7], v[18:19]
	v_fma_f64 v[16:17], v[22:23], s[12:13], v[16:17]
	;; [unrolled: 1-line block ×4, first 2 shown]
	v_add_f64 v[26:27], v[26:27], v[30:31]
	v_fma_f64 v[28:29], v[12:13], s[18:19], v[18:19]
	v_fma_f64 v[16:17], v[12:13], s[18:19], v[16:17]
	v_mov_b32_e32 v12, 0xa5
	v_fma_f64 v[30:31], v[26:27], s[18:19], v[22:23]
	v_fma_f64 v[18:19], v[26:27], s[18:19], v[20:21]
	buffer_store_dword v28, off, s[40:43], 0 offset:16 ; 4-byte Folded Spill
	buffer_store_dword v29, off, s[40:43], 0 offset:20 ; 4-byte Folded Spill
	buffer_store_dword v30, off, s[40:43], 0 offset:24 ; 4-byte Folded Spill
	buffer_store_dword v31, off, s[40:43], 0 offset:28 ; 4-byte Folded Spill
	v_mul_u32_u24_sdwa v0, v0, v12 dst_sel:DWORD dst_unused:UNUSED_PAD src0_sel:WORD_0 src1_sel:DWORD
	buffer_store_dword v16, off, s[40:43], 0 offset:32 ; 4-byte Folded Spill
	buffer_store_dword v17, off, s[40:43], 0 offset:36 ; 4-byte Folded Spill
	;; [unrolled: 1-line block ×4, first 2 shown]
	s_waitcnt_vscnt null, 0x0
	s_barrier
	buffer_gl0_inv
	v_add_lshl_u32 v0, v0, v1, 4
	ds_write_b128 v0, v[180:183]
	ds_write_b128 v0, v[4:7] offset:528
	ds_write_b128 v0, v[184:187] offset:1056
	ds_write_b128 v0, v[188:191] offset:1584
	buffer_store_dword v0, off, s[40:43], 0 offset:260 ; 4-byte Folded Spill
	ds_write_b128 v0, v[8:11] offset:2112
	v_mad_u16 v1, 0xa5, v2, v3
	v_mov_b32_e32 v0, 4
	v_lshlrev_b32_sdwa v1, v0, v1 dst_sel:DWORD dst_unused:UNUSED_PAD src0_sel:DWORD src1_sel:WORD_0
	ds_write_b128 v1, v[148:151]
	ds_write_b128 v1, v[144:147] offset:528
	ds_write_b128 v1, v[156:159] offset:1056
	ds_write_b128 v1, v[152:155] offset:1584
	buffer_store_dword v1, off, s[40:43], 0 offset:264 ; 4-byte Folded Spill
	ds_write_b128 v1, v[140:143] offset:2112
	s_and_saveexec_b32 s1, vcc_lo
	s_cbranch_execz .LBB0_9
; %bb.8:
	v_add_f64 v[1:2], v[138:139], v[166:167]
	v_add_f64 v[3:4], v[136:137], v[160:161]
	;; [unrolled: 1-line block ×8, first 2 shown]
	buffer_load_dword v5, off, s[40:43], 0 offset:236 ; 4-byte Folded Reload
	s_waitcnt vmcnt(0)
	v_lshlrev_b32_sdwa v0, v0, v5 dst_sel:DWORD dst_unused:UNUSED_PAD src0_sel:DWORD src1_sel:WORD_0
	ds_write_b128 v0, v[176:179] offset:26928
	s_clause 0x3
	buffer_load_dword v5, off, s[40:43], 0 offset:16
	buffer_load_dword v6, off, s[40:43], 0 offset:20
	;; [unrolled: 1-line block ×4, first 2 shown]
	s_waitcnt vmcnt(0)
	ds_write_b128 v0, v[5:8] offset:27456
	s_clause 0x3
	buffer_load_dword v5, off, s[40:43], 0 offset:32
	buffer_load_dword v6, off, s[40:43], 0 offset:36
	;; [unrolled: 1-line block ×4, first 2 shown]
	s_waitcnt vmcnt(0)
	ds_write_b128 v0, v[5:8] offset:27984
	ds_write_b128 v0, v[1:4] offset:26400
	s_clause 0x3
	buffer_load_dword v1, off, s[40:43], 0
	buffer_load_dword v2, off, s[40:43], 0 offset:4
	buffer_load_dword v3, off, s[40:43], 0 offset:8
	;; [unrolled: 1-line block ×3, first 2 shown]
	s_waitcnt vmcnt(0)
	ds_write_b128 v0, v[1:4] offset:28512
.LBB0_9:
	s_or_b32 exec_lo, exec_lo, s1
	v_mad_u64_u32 v[0:1], null, 0xa0, v38, s[2:3]
	buffer_store_dword v38, off, s[40:43], 0 offset:56 ; 4-byte Folded Spill
	s_waitcnt lgkmcnt(0)
	s_waitcnt_vscnt null, 0x0
	s_barrier
	buffer_gl0_inv
	s_mov_b32 s16, 0x43842ef
	s_mov_b32 s17, 0xbfefac9e
	v_add_co_u32 v18, s1, 0x800, v0
	v_add_co_ci_u32_e64 v19, s1, 0, v1, s1
	v_add_co_u32 v2, s1, 0x9a0, v0
	v_add_co_ci_u32_e64 v3, s1, 0, v1, s1
	global_load_dwordx4 v[152:155], v[18:19], off offset:416
	v_add_co_u32 v20, s1, 0x9e0, v0
	s_clause 0x3
	global_load_dwordx4 v[148:151], v[2:3], off offset:16
	global_load_dwordx4 v[140:143], v[2:3], off offset:32
	;; [unrolled: 1-line block ×4, first 2 shown]
	v_add_co_ci_u32_e64 v21, s1, 0, v1, s1
	s_clause 0x1
	global_load_dwordx4 v[156:159], v[20:21], off offset:16
	global_load_dwordx4 v[160:163], v[20:21], off offset:32
	ds_read_b128 v[2:5], v14 offset:2640
	ds_read_b128 v[6:9], v14 offset:5280
	;; [unrolled: 1-line block ×3, first 2 shown]
	ds_read_b128 v[220:223], v14
	ds_read_b128 v[168:171], v14 offset:10560
	ds_read_b128 v[172:175], v14 offset:13200
	v_add_co_u32 v0, s1, 0xa20, v0
	v_add_co_ci_u32_e64 v1, s1, 0, v1, s1
	global_load_dwordx4 v[164:167], v[18:19], off offset:544
	s_mov_b32 s22, 0x640f44db
	s_mov_b32 s23, 0xbfc2375f
	;; [unrolled: 1-line block ×28, first 2 shown]
	s_waitcnt vmcnt(7) lgkmcnt(5)
	v_mul_f64 v[22:23], v[4:5], v[154:155]
	v_mul_f64 v[24:25], v[2:3], v[154:155]
	s_waitcnt vmcnt(6) lgkmcnt(4)
	v_mul_f64 v[26:27], v[8:9], v[150:151]
	v_mul_f64 v[28:29], v[6:7], v[150:151]
	;; [unrolled: 3-line block ×3, first 2 shown]
	v_fma_f64 v[22:23], v[2:3], v[152:153], -v[22:23]
	v_fma_f64 v[24:25], v[4:5], v[152:153], v[24:25]
	s_waitcnt vmcnt(4) lgkmcnt(1)
	v_mul_f64 v[2:3], v[170:171], v[138:139]
	v_mul_f64 v[4:5], v[168:169], v[138:139]
	v_fma_f64 v[180:181], v[6:7], v[148:149], -v[26:27]
	v_fma_f64 v[182:183], v[8:9], v[148:149], v[28:29]
	s_waitcnt vmcnt(3) lgkmcnt(0)
	v_mul_f64 v[6:7], v[174:175], v[146:147]
	v_mul_f64 v[8:9], v[172:173], v[146:147]
	v_fma_f64 v[184:185], v[10:11], v[140:141], -v[30:31]
	v_fma_f64 v[186:187], v[12:13], v[140:141], v[186:187]
	v_fma_f64 v[188:189], v[168:169], v[136:137], -v[2:3]
	v_fma_f64 v[190:191], v[170:171], v[136:137], v[4:5]
	ds_read_b128 v[2:5], v14 offset:15840
	v_fma_f64 v[192:193], v[172:173], v[144:145], -v[6:7]
	v_fma_f64 v[194:195], v[174:175], v[144:145], v[8:9]
	ds_read_b128 v[6:9], v14 offset:18480
	s_clause 0x1
	global_load_dwordx4 v[168:171], v[20:21], off offset:48
	global_load_dwordx4 v[172:175], v[0:1], off offset:16
	s_waitcnt vmcnt(4) lgkmcnt(1)
	v_mul_f64 v[10:11], v[4:5], v[158:159]
	v_fma_f64 v[196:197], v[2:3], v[156:157], -v[10:11]
	v_mul_f64 v[2:3], v[2:3], v[158:159]
	v_add_f64 v[130:131], v[192:193], v[196:197]
	v_fma_f64 v[198:199], v[4:5], v[156:157], v[2:3]
	s_waitcnt vmcnt(3) lgkmcnt(0)
	v_mul_f64 v[2:3], v[8:9], v[162:163]
	v_add_f64 v[134:135], v[192:193], -v[196:197]
	v_add_f64 v[128:129], v[194:195], -v[198:199]
	v_fma_f64 v[200:201], v[6:7], v[160:161], -v[2:3]
	v_mul_f64 v[2:3], v[6:7], v[162:163]
	v_add_f64 v[16:17], v[194:195], v[198:199]
	v_mul_f64 v[44:45], v[134:135], s[2:3]
	v_mul_f64 v[132:133], v[128:129], s[2:3]
	v_add_f64 v[42:43], v[188:189], -v[200:201]
	v_fma_f64 v[202:203], v[8:9], v[160:161], v[2:3]
	ds_read_b128 v[0:3], v14 offset:21120
	ds_read_b128 v[4:7], v14 offset:23760
	v_mul_f64 v[124:125], v[42:43], s[6:7]
	v_add_f64 v[38:39], v[190:191], -v[202:203]
	v_mul_f64 v[40:41], v[38:39], s[6:7]
	s_waitcnt vmcnt(1) lgkmcnt(1)
	v_mul_f64 v[8:9], v[2:3], v[170:171]
	v_fma_f64 v[204:205], v[0:1], v[168:169], -v[8:9]
	v_mul_f64 v[0:1], v[0:1], v[170:171]
	v_fma_f64 v[206:207], v[2:3], v[168:169], v[0:1]
	s_waitcnt lgkmcnt(0)
	v_mul_f64 v[0:1], v[6:7], v[166:167]
	v_add_f64 v[253:254], v[186:187], -v[206:207]
	v_fma_f64 v[208:209], v[4:5], v[164:165], -v[0:1]
	v_mul_f64 v[0:1], v[4:5], v[166:167]
	v_fma_f64 v[210:211], v[6:7], v[164:165], v[0:1]
	ds_read_b128 v[0:3], v14 offset:26400
	s_waitcnt vmcnt(0) lgkmcnt(0)
	v_mul_f64 v[4:5], v[0:1], v[174:175]
	v_fma_f64 v[212:213], v[2:3], v[172:173], v[4:5]
	v_mul_f64 v[2:3], v[2:3], v[174:175]
	v_add_f64 v[227:228], v[24:25], v[212:213]
	v_fma_f64 v[214:215], v[0:1], v[172:173], -v[2:3]
	v_add_f64 v[0:1], v[24:25], -v[212:213]
	v_add_f64 v[10:11], v[22:23], v[214:215]
	v_mul_f64 v[6:7], v[0:1], s[16:17]
	v_mul_f64 v[2:3], v[0:1], s[26:27]
	;; [unrolled: 1-line block ×5, first 2 shown]
	v_fma_f64 v[20:21], v[10:11], s[22:23], -v[6:7]
	v_fma_f64 v[26:27], v[10:11], s[22:23], v[6:7]
	v_add_f64 v[6:7], v[22:23], -v[214:215]
	v_fma_f64 v[12:13], v[10:11], s[24:25], -v[2:3]
	v_fma_f64 v[2:3], v[10:11], s[24:25], v[2:3]
	v_fma_f64 v[18:19], v[10:11], s[20:21], -v[4:5]
	v_fma_f64 v[4:5], v[10:11], s[20:21], v[4:5]
	;; [unrolled: 2-line block ×4, first 2 shown]
	v_add_f64 v[251:252], v[220:221], v[26:27]
	v_mul_f64 v[216:217], v[6:7], s[16:17]
	v_mul_f64 v[8:9], v[6:7], s[26:27]
	;; [unrolled: 1-line block ×5, first 2 shown]
	v_add_f64 v[243:244], v[220:221], v[28:29]
	v_add_f64 v[12:13], v[220:221], v[12:13]
	;; [unrolled: 1-line block ×4, first 2 shown]
	v_fma_f64 v[235:236], v[227:228], s[22:23], -v[216:217]
	v_fma_f64 v[229:230], v[227:228], s[24:25], v[8:9]
	v_fma_f64 v[8:9], v[227:228], s[24:25], -v[8:9]
	v_fma_f64 v[231:232], v[227:228], s[20:21], v[10:11]
	;; [unrolled: 2-line block ×3, first 2 shown]
	v_fma_f64 v[237:238], v[227:228], s[18:19], v[218:219]
	v_fma_f64 v[245:246], v[227:228], s[18:19], -v[218:219]
	v_fma_f64 v[247:248], v[227:228], s[12:13], v[6:7]
	v_fma_f64 v[227:228], v[227:228], s[12:13], -v[6:7]
	v_add_f64 v[216:217], v[220:221], v[22:23]
	v_add_f64 v[218:219], v[222:223], v[24:25]
	;; [unrolled: 1-line block ×4, first 2 shown]
	v_add_f64 v[235:236], v[180:181], -v[208:209]
	v_add_f64 v[22:23], v[222:223], v[229:230]
	v_add_f64 v[32:33], v[222:223], v[8:9]
	;; [unrolled: 1-line block ×9, first 2 shown]
	v_add_f64 v[233:234], v[182:183], -v[210:211]
	v_add_f64 v[227:228], v[182:183], v[210:211]
	v_add_f64 v[231:232], v[220:221], v[225:226]
	;; [unrolled: 1-line block ×8, first 2 shown]
	v_mul_f64 v[28:29], v[235:236], s[14:15]
	v_mul_f64 v[26:27], v[233:234], s[14:15]
	v_fma_f64 v[10:11], v[227:228], s[20:21], v[28:29]
	v_fma_f64 v[0:1], v[225:226], s[20:21], -v[26:27]
	v_fma_f64 v[26:27], v[225:226], s[20:21], v[26:27]
	v_add_f64 v[10:11], v[10:11], v[22:23]
	v_mul_f64 v[22:23], v[253:254], s[16:17]
	v_add_f64 v[0:1], v[0:1], v[12:13]
	v_add_f64 v[24:25], v[26:27], v[24:25]
	v_fma_f64 v[26:27], v[227:228], s[20:21], -v[28:29]
	v_fma_f64 v[28:29], v[16:17], s[12:13], -v[44:45]
	;; [unrolled: 1-line block ×3, first 2 shown]
	v_fma_f64 v[22:23], v[245:246], s[22:23], v[22:23]
	v_add_f64 v[26:27], v[26:27], v[32:33]
	v_mul_f64 v[32:33], v[235:236], s[6:7]
	v_add_f64 v[12:13], v[12:13], v[0:1]
	v_add_f64 v[0:1], v[184:185], -v[204:205]
	v_add_f64 v[22:23], v[22:23], v[24:25]
	v_mul_f64 v[30:31], v[0:1], s[16:17]
	v_fma_f64 v[18:19], v[247:248], s[22:23], v[30:31]
	v_fma_f64 v[24:25], v[247:248], s[22:23], -v[30:31]
	v_mul_f64 v[30:31], v[233:234], s[6:7]
	v_add_f64 v[18:19], v[18:19], v[10:11]
	v_add_f64 v[10:11], v[188:189], v[200:201]
	;; [unrolled: 1-line block ×3, first 2 shown]
	v_fma_f64 v[20:21], v[10:11], s[18:19], -v[40:41]
	v_fma_f64 v[26:27], v[10:11], s[18:19], v[40:41]
	v_add_f64 v[20:21], v[20:21], v[12:13]
	v_add_f64 v[12:13], v[190:191], v[202:203]
	;; [unrolled: 1-line block ×3, first 2 shown]
	v_fma_f64 v[26:27], v[12:13], s[18:19], -v[124:125]
	v_fma_f64 v[126:127], v[12:13], s[18:19], v[124:125]
	v_add_f64 v[24:25], v[26:27], v[24:25]
	v_fma_f64 v[26:27], v[130:131], s[12:13], v[132:133]
	v_add_f64 v[126:127], v[126:127], v[18:19]
	v_fma_f64 v[18:19], v[130:131], s[12:13], -v[132:133]
	v_add_f64 v[24:25], v[28:29], v[24:25]
	v_add_f64 v[22:23], v[26:27], v[22:23]
	v_fma_f64 v[26:27], v[225:226], s[18:19], -v[30:31]
	v_fma_f64 v[28:29], v[227:228], s[18:19], v[32:33]
	v_add_f64 v[18:19], v[18:19], v[20:21]
	v_fma_f64 v[20:21], v[16:17], s[12:13], v[44:45]
	v_fma_f64 v[30:31], v[225:226], s[18:19], v[30:31]
	v_add_f64 v[26:27], v[26:27], v[34:35]
	v_mul_f64 v[34:35], v[253:254], s[36:37]
	v_add_f64 v[28:29], v[28:29], v[36:37]
	v_add_f64 v[20:21], v[20:21], v[126:127]
	;; [unrolled: 1-line block ×3, first 2 shown]
	v_fma_f64 v[30:31], v[227:228], s[18:19], -v[32:33]
	v_fma_f64 v[36:37], v[245:246], s[12:13], -v[34:35]
	v_add_f64 v[6:7], v[30:31], v[6:7]
	v_fma_f64 v[30:31], v[245:246], s[12:13], v[34:35]
	v_add_f64 v[26:27], v[36:37], v[26:27]
	v_mul_f64 v[36:37], v[0:1], s[36:37]
	v_add_f64 v[8:9], v[30:31], v[8:9]
	v_fma_f64 v[40:41], v[247:248], s[12:13], v[36:37]
	v_fma_f64 v[30:31], v[247:248], s[12:13], -v[36:37]
	v_add_f64 v[28:29], v[40:41], v[28:29]
	v_mul_f64 v[40:41], v[38:39], s[28:29]
	v_add_f64 v[6:7], v[30:31], v[6:7]
	v_fma_f64 v[44:45], v[10:11], s[22:23], -v[40:41]
	v_fma_f64 v[30:31], v[10:11], s[22:23], v[40:41]
	v_add_f64 v[26:27], v[44:45], v[26:27]
	v_mul_f64 v[44:45], v[42:43], s[28:29]
	v_add_f64 v[8:9], v[30:31], v[8:9]
	v_fma_f64 v[46:47], v[12:13], s[22:23], v[44:45]
	v_fma_f64 v[30:31], v[12:13], s[22:23], -v[44:45]
	v_add_f64 v[28:29], v[46:47], v[28:29]
	v_mul_f64 v[46:47], v[128:129], s[30:31]
	v_add_f64 v[30:31], v[30:31], v[6:7]
	v_fma_f64 v[124:125], v[130:131], s[24:25], -v[46:47]
	v_fma_f64 v[6:7], v[130:131], s[24:25], v[46:47]
	v_add_f64 v[26:27], v[124:125], v[26:27]
	v_mul_f64 v[124:125], v[134:135], s[30:31]
	v_add_f64 v[6:7], v[6:7], v[8:9]
	v_fma_f64 v[32:33], v[16:17], s[24:25], -v[124:125]
	v_fma_f64 v[126:127], v[16:17], s[24:25], v[124:125]
	v_mul_f64 v[124:125], v[128:129], s[6:7]
	v_add_f64 v[8:9], v[32:33], v[30:31]
	v_mul_f64 v[30:31], v[233:234], s[36:37]
	v_add_f64 v[28:29], v[126:127], v[28:29]
	v_mul_f64 v[126:127], v[134:135], s[6:7]
	v_fma_f64 v[32:33], v[225:226], s[12:13], -v[30:31]
	v_fma_f64 v[30:31], v[225:226], s[12:13], v[30:31]
	v_add_f64 v[4:5], v[32:33], v[4:5]
	v_mul_f64 v[32:33], v[235:236], s[36:37]
	v_add_f64 v[30:31], v[30:31], v[251:252]
	v_fma_f64 v[34:35], v[227:228], s[12:13], v[32:33]
	v_fma_f64 v[32:33], v[227:228], s[12:13], -v[32:33]
	v_add_f64 v[2:3], v[34:35], v[2:3]
	v_mul_f64 v[34:35], v[253:254], s[34:35]
	v_add_f64 v[32:33], v[32:33], v[249:250]
	v_fma_f64 v[36:37], v[245:246], s[20:21], -v[34:35]
	v_fma_f64 v[34:35], v[245:246], s[20:21], v[34:35]
	v_add_f64 v[4:5], v[36:37], v[4:5]
	v_mul_f64 v[36:37], v[0:1], s[34:35]
	v_add_f64 v[30:31], v[34:35], v[30:31]
	v_fma_f64 v[40:41], v[247:248], s[20:21], v[36:37]
	v_fma_f64 v[34:35], v[247:248], s[20:21], -v[36:37]
	v_fma_f64 v[36:37], v[16:17], s[18:19], -v[126:127]
	v_add_f64 v[2:3], v[40:41], v[2:3]
	v_mul_f64 v[40:41], v[38:39], s[26:27]
	v_add_f64 v[32:33], v[34:35], v[32:33]
	v_fma_f64 v[44:45], v[10:11], s[24:25], -v[40:41]
	v_fma_f64 v[34:35], v[10:11], s[24:25], v[40:41]
	v_mul_f64 v[40:41], v[253:254], s[26:27]
	v_add_f64 v[4:5], v[44:45], v[4:5]
	v_mul_f64 v[44:45], v[42:43], s[26:27]
	v_add_f64 v[30:31], v[34:35], v[30:31]
	v_fma_f64 v[34:35], v[12:13], s[24:25], -v[44:45]
	v_fma_f64 v[46:47], v[12:13], s[24:25], v[44:45]
	v_fma_f64 v[44:45], v[245:246], s[24:25], -v[40:41]
	v_add_f64 v[32:33], v[34:35], v[32:33]
	v_fma_f64 v[34:35], v[130:131], s[18:19], v[124:125]
	v_add_f64 v[46:47], v[46:47], v[2:3]
	v_fma_f64 v[2:3], v[130:131], s[18:19], -v[124:125]
	v_add_f64 v[251:252], v[36:37], v[32:33]
	v_add_f64 v[249:250], v[34:35], v[30:31]
	v_mul_f64 v[30:31], v[233:234], s[28:29]
	v_mul_f64 v[34:35], v[235:236], s[28:29]
	v_add_f64 v[2:3], v[2:3], v[4:5]
	v_fma_f64 v[4:5], v[16:17], s[18:19], v[126:127]
	v_fma_f64 v[32:33], v[225:226], s[22:23], -v[30:31]
	v_fma_f64 v[36:37], v[227:228], s[22:23], v[34:35]
	v_fma_f64 v[30:31], v[225:226], s[22:23], v[30:31]
	v_add_f64 v[4:5], v[4:5], v[46:47]
	v_fma_f64 v[34:35], v[227:228], s[22:23], -v[34:35]
	v_add_f64 v[32:33], v[32:33], v[243:244]
	v_add_f64 v[36:37], v[36:37], v[241:242]
	v_add_f64 v[30:31], v[30:31], v[239:240]
	v_add_f64 v[34:35], v[34:35], v[237:238]
	v_add_f64 v[32:33], v[44:45], v[32:33]
	v_mul_f64 v[44:45], v[0:1], s[26:27]
	v_mul_f64 v[0:1], v[0:1], s[6:7]
	v_fma_f64 v[46:47], v[247:248], s[24:25], v[44:45]
	v_add_f64 v[36:37], v[46:47], v[36:37]
	v_mul_f64 v[46:47], v[38:39], s[2:3]
	v_mul_f64 v[38:39], v[38:39], s[34:35]
	v_fma_f64 v[124:125], v[10:11], s[12:13], -v[46:47]
	v_add_f64 v[32:33], v[124:125], v[32:33]
	v_mul_f64 v[124:125], v[42:43], s[2:3]
	v_mul_f64 v[42:43], v[42:43], s[34:35]
	v_fma_f64 v[126:127], v[12:13], s[12:13], v[124:125]
	v_add_f64 v[36:37], v[126:127], v[36:37]
	v_mul_f64 v[126:127], v[128:129], s[34:35]
	v_fma_f64 v[132:133], v[130:131], s[20:21], -v[126:127]
	v_add_f64 v[241:242], v[132:133], v[32:33]
	v_mul_f64 v[32:33], v[134:135], s[34:35]
	v_fma_f64 v[132:133], v[16:17], s[20:21], v[32:33]
	v_fma_f64 v[32:33], v[16:17], s[20:21], -v[32:33]
	v_add_f64 v[243:244], v[132:133], v[36:37]
	v_fma_f64 v[36:37], v[245:246], s[24:25], v[40:41]
	v_mul_f64 v[40:41], v[253:254], s[6:7]
	ds_write_b128 v14, v[18:21] offset:2640
	ds_write_b128 v14, v[26:29] offset:5280
	;; [unrolled: 1-line block ×4, first 2 shown]
	v_add_f64 v[30:31], v[36:37], v[30:31]
	v_fma_f64 v[36:37], v[247:248], s[24:25], -v[44:45]
	v_fma_f64 v[44:45], v[245:246], s[18:19], -v[40:41]
	v_add_f64 v[34:35], v[36:37], v[34:35]
	v_fma_f64 v[36:37], v[10:11], s[12:13], v[46:47]
	v_mul_f64 v[46:47], v[134:135], s[16:17]
	v_add_f64 v[30:31], v[36:37], v[30:31]
	v_fma_f64 v[36:37], v[12:13], s[12:13], -v[124:125]
	v_add_f64 v[34:35], v[36:37], v[34:35]
	v_fma_f64 v[36:37], v[130:131], s[20:21], v[126:127]
	v_add_f64 v[239:240], v[32:33], v[34:35]
	v_add_f64 v[237:238], v[36:37], v[30:31]
	v_mul_f64 v[30:31], v[233:234], s[30:31]
	v_mul_f64 v[34:35], v[235:236], s[30:31]
	v_fma_f64 v[32:33], v[225:226], s[24:25], -v[30:31]
	v_fma_f64 v[36:37], v[227:228], s[24:25], v[34:35]
	v_fma_f64 v[30:31], v[225:226], s[24:25], v[30:31]
	v_add_f64 v[32:33], v[32:33], v[231:232]
	v_add_f64 v[36:37], v[36:37], v[229:230]
	;; [unrolled: 1-line block ×4, first 2 shown]
	v_fma_f64 v[44:45], v[247:248], s[18:19], v[0:1]
	v_fma_f64 v[0:1], v[247:248], s[18:19], -v[0:1]
	v_add_f64 v[36:37], v[44:45], v[36:37]
	v_fma_f64 v[44:45], v[10:11], s[20:21], -v[38:39]
	v_fma_f64 v[10:11], v[10:11], s[20:21], v[38:39]
	v_add_f64 v[32:33], v[44:45], v[32:33]
	v_fma_f64 v[44:45], v[12:13], s[20:21], v[42:43]
	v_fma_f64 v[12:13], v[12:13], s[20:21], -v[42:43]
	v_add_f64 v[36:37], v[44:45], v[36:37]
	v_mul_f64 v[44:45], v[128:129], s[16:17]
	v_fma_f64 v[124:125], v[130:131], s[22:23], -v[44:45]
	v_add_f64 v[229:230], v[124:125], v[32:33]
	v_fma_f64 v[32:33], v[16:17], s[22:23], v[46:47]
	v_fma_f64 v[16:17], v[16:17], s[22:23], -v[46:47]
	v_add_f64 v[231:232], v[32:33], v[36:37]
	v_fma_f64 v[32:33], v[227:228], s[24:25], -v[34:35]
	v_fma_f64 v[34:35], v[245:246], s[18:19], v[40:41]
	v_add_f64 v[32:33], v[32:33], v[222:223]
	v_add_f64 v[30:31], v[34:35], v[30:31]
	;; [unrolled: 1-line block ×3, first 2 shown]
	v_fma_f64 v[32:33], v[130:131], s[22:23], v[44:45]
	v_add_f64 v[10:11], v[10:11], v[30:31]
	v_add_f64 v[0:1], v[12:13], v[0:1]
	;; [unrolled: 1-line block ×22, first 2 shown]
	v_add_co_u32 v0, s1, 0x7000, v255
	v_add_co_ci_u32_e64 v1, s1, 0, v224, s1
	ds_write_b128 v14, v[229:232] offset:13200
	ds_write_b128 v14, v[10:13] offset:15840
	;; [unrolled: 1-line block ×6, first 2 shown]
	ds_write_b128 v14, v[180:183]
	s_waitcnt lgkmcnt(0)
	s_barrier
	buffer_gl0_inv
	global_load_dwordx4 v[0:3], v[0:1], off offset:368
	v_add_co_u32 v4, s1, 0x7800, v255
	v_add_co_ci_u32_e64 v5, s1, 0, v224, s1
	v_add_co_u32 v8, s1, 0x8000, v255
	v_add_co_ci_u32_e64 v9, s1, 0, v224, s1
	global_load_dwordx4 v[4:7], v[4:5], off offset:960
	v_add_co_u32 v12, s1, 0x9000, v255
	global_load_dwordx4 v[8:11], v[8:9], off offset:1552
	v_add_co_ci_u32_e64 v13, s1, 0, v224, s1
	global_load_dwordx4 v[18:21], v[12:13], off offset:96
	ds_read_b128 v[22:25], v14
	ds_read_b128 v[26:29], v14 offset:2640
	s_waitcnt vmcnt(3) lgkmcnt(1)
	v_mul_f64 v[12:13], v[24:25], v[2:3]
	v_mul_f64 v[2:3], v[22:23], v[2:3]
	v_fma_f64 v[180:181], v[22:23], v[0:1], -v[12:13]
	s_waitcnt vmcnt(2) lgkmcnt(0)
	v_mul_f64 v[12:13], v[28:29], v[6:7]
	v_mul_f64 v[6:7], v[26:27], v[6:7]
	v_fma_f64 v[182:183], v[24:25], v[0:1], v[2:3]
	ds_read_b128 v[0:3], v14 offset:5280
	v_fma_f64 v[22:23], v[26:27], v[4:5], -v[12:13]
	v_fma_f64 v[24:25], v[28:29], v[4:5], v[6:7]
	ds_read_b128 v[4:7], v14 offset:7920
	s_waitcnt vmcnt(1) lgkmcnt(1)
	v_mul_f64 v[12:13], v[2:3], v[10:11]
	v_mul_f64 v[10:11], v[0:1], v[10:11]
	s_waitcnt vmcnt(0) lgkmcnt(0)
	v_mul_f64 v[16:17], v[4:5], v[20:21]
	v_fma_f64 v[0:1], v[0:1], v[8:9], -v[12:13]
	v_fma_f64 v[2:3], v[2:3], v[8:9], v[10:11]
	v_mul_f64 v[12:13], v[6:7], v[20:21]
	v_add_co_u32 v8, s1, 0x9800, v255
	v_add_co_ci_u32_e64 v9, s1, 0, v224, s1
	global_load_dwordx4 v[8:11], v[8:9], off offset:688
	v_fma_f64 v[6:7], v[6:7], v[18:19], v[16:17]
	v_fma_f64 v[4:5], v[4:5], v[18:19], -v[12:13]
	v_add_co_u32 v12, s1, 0xa000, v255
	v_add_co_ci_u32_e64 v13, s1, 0, v224, s1
	global_load_dwordx4 v[18:21], v[12:13], off offset:1280
	ds_read_b128 v[26:29], v14 offset:10560
	ds_read_b128 v[184:187], v14 offset:13200
	s_waitcnt vmcnt(1) lgkmcnt(1)
	v_mul_f64 v[12:13], v[28:29], v[10:11]
	v_mul_f64 v[16:17], v[26:27], v[10:11]
	v_fma_f64 v[10:11], v[26:27], v[8:9], -v[12:13]
	v_fma_f64 v[12:13], v[28:29], v[8:9], v[16:17]
	s_waitcnt vmcnt(0) lgkmcnt(0)
	v_mul_f64 v[8:9], v[186:187], v[20:21]
	v_mul_f64 v[16:17], v[184:185], v[20:21]
	v_fma_f64 v[26:27], v[184:185], v[18:19], -v[8:9]
	v_add_co_u32 v8, s1, 0xa800, v255
	v_add_co_ci_u32_e64 v9, s1, 0, v224, s1
	v_fma_f64 v[28:29], v[186:187], v[18:19], v[16:17]
	global_load_dwordx4 v[18:21], v[8:9], off offset:1872
	v_add_co_u32 v8, s1, 0xb800, v255
	v_add_co_ci_u32_e64 v9, s1, 0, v224, s1
	global_load_dwordx4 v[184:187], v[8:9], off offset:416
	ds_read_b128 v[188:191], v14 offset:15840
	ds_read_b128 v[192:195], v14 offset:18480
	s_waitcnt vmcnt(1) lgkmcnt(1)
	v_mul_f64 v[8:9], v[190:191], v[20:21]
	v_mul_f64 v[16:17], v[188:189], v[20:21]
	v_fma_f64 v[188:189], v[188:189], v[18:19], -v[8:9]
	s_waitcnt vmcnt(0) lgkmcnt(0)
	v_mul_f64 v[8:9], v[194:195], v[186:187]
	v_fma_f64 v[190:191], v[190:191], v[18:19], v[16:17]
	v_mul_f64 v[16:17], v[192:193], v[186:187]
	v_fma_f64 v[18:19], v[192:193], v[184:185], -v[8:9]
	v_add_co_u32 v8, s1, 0xc000, v255
	v_add_co_ci_u32_e64 v9, s1, 0, v224, s1
	v_fma_f64 v[20:21], v[194:195], v[184:185], v[16:17]
	v_add_co_u32 v16, s1, 0xc800, v255
	v_add_co_ci_u32_e64 v17, s1, 0, v224, s1
	s_clause 0x1
	global_load_dwordx4 v[184:187], v[8:9], off offset:1008
	global_load_dwordx4 v[192:195], v[16:17], off offset:1600
	ds_read_b128 v[196:199], v14 offset:21120
	ds_read_b128 v[200:203], v14 offset:23760
	s_waitcnt vmcnt(1) lgkmcnt(1)
	v_mul_f64 v[8:9], v[198:199], v[186:187]
	v_mul_f64 v[16:17], v[196:197], v[186:187]
	v_fma_f64 v[196:197], v[196:197], v[184:185], -v[8:9]
	s_waitcnt vmcnt(0) lgkmcnt(0)
	v_mul_f64 v[8:9], v[202:203], v[194:195]
	v_fma_f64 v[198:199], v[198:199], v[184:185], v[16:17]
	v_mul_f64 v[16:17], v[200:201], v[194:195]
	v_fma_f64 v[184:185], v[200:201], v[192:193], -v[8:9]
	v_add_co_u32 v8, s1, 0xd800, v255
	v_add_co_ci_u32_e64 v9, s1, 0, v224, s1
	v_fma_f64 v[186:187], v[202:203], v[192:193], v[16:17]
	ds_read_b128 v[200:203], v14 offset:26400
	global_load_dwordx4 v[192:195], v[8:9], off offset:144
	s_waitcnt vmcnt(0) lgkmcnt(0)
	v_mul_f64 v[8:9], v[202:203], v[194:195]
	v_mul_f64 v[16:17], v[200:201], v[194:195]
	v_fma_f64 v[200:201], v[200:201], v[192:193], -v[8:9]
	v_fma_f64 v[202:203], v[202:203], v[192:193], v[16:17]
	ds_write_b128 v14, v[180:183]
	ds_write_b128 v14, v[22:25] offset:2640
	ds_write_b128 v14, v[0:3] offset:5280
	;; [unrolled: 1-line block ×10, first 2 shown]
	s_waitcnt lgkmcnt(0)
	s_barrier
	buffer_gl0_inv
	ds_read_b128 v[180:183], v14
	ds_read_b128 v[184:187], v14 offset:2640
	ds_read_b128 v[188:191], v14 offset:5280
	;; [unrolled: 1-line block ×7, first 2 shown]
	s_waitcnt lgkmcnt(6)
	v_add_f64 v[0:1], v[180:181], v[184:185]
	v_add_f64 v[2:3], v[182:183], v[186:187]
	s_waitcnt lgkmcnt(1)
	v_add_f64 v[30:31], v[10:11], v[20:21]
	v_add_f64 v[32:33], v[10:11], -v[20:21]
	s_waitcnt lgkmcnt(0)
	v_add_f64 v[196:197], v[4:5], v[22:23]
	v_add_f64 v[198:199], v[4:5], -v[22:23]
	v_add_f64 v[0:1], v[0:1], v[188:189]
	v_add_f64 v[2:3], v[2:3], v[190:191]
	v_mul_f64 v[230:231], v[30:31], s[12:13]
	v_mul_f64 v[228:229], v[32:33], s[2:3]
	v_add_f64 v[0:1], v[0:1], v[192:193]
	v_add_f64 v[2:3], v[2:3], v[194:195]
	;; [unrolled: 1-line block ×7, first 2 shown]
	v_add_f64 v[2:3], v[8:9], -v[18:19]
	v_add_f64 v[8:9], v[12:13], v[18:19]
	v_add_f64 v[10:11], v[16:17], v[20:21]
	;; [unrolled: 1-line block ×3, first 2 shown]
	v_add_f64 v[16:17], v[6:7], -v[24:25]
	v_add_f64 v[18:19], v[8:9], v[22:23]
	v_add_f64 v[20:21], v[10:11], v[24:25]
	ds_read_b128 v[4:7], v14 offset:21120
	ds_read_b128 v[8:11], v14 offset:23760
	v_mul_f64 v[204:205], v[16:17], s[6:7]
	v_mul_f64 v[206:207], v[12:13], s[18:19]
	s_waitcnt lgkmcnt(1)
	v_add_f64 v[200:201], v[192:193], v[4:5]
	v_add_f64 v[34:35], v[194:195], v[6:7]
	v_add_f64 v[192:193], v[192:193], -v[4:5]
	v_add_f64 v[36:37], v[194:195], -v[6:7]
	v_add_f64 v[4:5], v[18:19], v[4:5]
	v_add_f64 v[6:7], v[20:21], v[6:7]
	s_waitcnt lgkmcnt(0)
	v_add_f64 v[194:195], v[188:189], v[8:9]
	v_add_f64 v[38:39], v[190:191], v[10:11]
	v_add_f64 v[188:189], v[188:189], -v[8:9]
	v_add_f64 v[40:41], v[190:191], -v[10:11]
	v_add_f64 v[8:9], v[4:5], v[8:9]
	v_add_f64 v[10:11], v[6:7], v[10:11]
	ds_read_b128 v[4:7], v14 offset:26400
	s_waitcnt lgkmcnt(0)
	s_barrier
	buffer_gl0_inv
	v_add_f64 v[18:19], v[186:187], -v[6:7]
	v_add_f64 v[20:21], v[184:185], v[4:5]
	v_add_f64 v[24:25], v[184:185], -v[4:5]
	v_add_f64 v[184:185], v[8:9], v[4:5]
	v_add_f64 v[22:23], v[186:187], v[6:7]
	;; [unrolled: 1-line block ×3, first 2 shown]
	v_mul_f64 v[8:9], v[18:19], s[16:17]
	v_mul_f64 v[4:5], v[18:19], s[26:27]
	;; [unrolled: 1-line block ×7, first 2 shown]
	v_fma_f64 v[44:45], v[20:21], s[22:23], v[8:9]
	v_fma_f64 v[8:9], v[20:21], s[22:23], -v[8:9]
	v_fma_f64 v[26:27], v[20:21], s[24:25], v[4:5]
	v_fma_f64 v[4:5], v[20:21], s[24:25], -v[4:5]
	;; [unrolled: 2-line block ×5, first 2 shown]
	v_mul_f64 v[6:7], v[22:23], s[24:25]
	v_mul_f64 v[20:21], v[22:23], s[20:21]
	;; [unrolled: 1-line block ×3, first 2 shown]
	v_fma_f64 v[134:135], v[24:25], s[28:29], v[126:127]
	v_fma_f64 v[126:127], v[24:25], s[16:17], v[126:127]
	;; [unrolled: 1-line block ×4, first 2 shown]
	v_add_f64 v[44:45], v[180:181], v[44:45]
	v_add_f64 v[208:209], v[180:181], v[8:9]
	v_mul_f64 v[8:9], v[40:41], s[14:15]
	v_add_f64 v[4:5], v[180:181], v[4:5]
	v_add_f64 v[28:29], v[180:181], v[28:29]
	;; [unrolled: 1-line block ×7, first 2 shown]
	v_fma_f64 v[130:131], v[24:25], s[30:31], v[6:7]
	v_fma_f64 v[6:7], v[24:25], s[26:27], v[6:7]
	;; [unrolled: 1-line block ×6, first 2 shown]
	v_add_f64 v[24:25], v[180:181], v[26:27]
	v_add_f64 v[212:213], v[182:183], v[190:191]
	v_mul_f64 v[190:191], v[36:37], s[16:17]
	v_add_f64 v[134:135], v[182:183], v[134:135]
	v_add_f64 v[126:127], v[182:183], v[126:127]
	;; [unrolled: 1-line block ×3, first 2 shown]
	v_fma_f64 v[10:11], v[194:195], s[20:21], v[8:9]
	v_fma_f64 v[8:9], v[194:195], s[20:21], -v[8:9]
	v_add_f64 v[26:27], v[182:183], v[130:131]
	v_add_f64 v[6:7], v[182:183], v[6:7]
	;; [unrolled: 1-line block ×6, first 2 shown]
	v_mul_f64 v[202:203], v[34:35], s[22:23]
	v_fma_f64 v[22:23], v[200:201], s[22:23], v[190:191]
	v_add_f64 v[18:19], v[10:11], v[24:25]
	v_mul_f64 v[10:11], v[38:39], s[20:21]
	v_add_f64 v[4:5], v[8:9], v[4:5]
	v_fma_f64 v[8:9], v[196:197], s[18:19], -v[204:205]
	v_add_f64 v[18:19], v[22:23], v[18:19]
	v_fma_f64 v[20:21], v[188:189], s[34:35], v[10:11]
	v_fma_f64 v[22:23], v[192:193], s[28:29], v[202:203]
	;; [unrolled: 1-line block ×3, first 2 shown]
	v_add_f64 v[20:21], v[20:21], v[26:27]
	v_mul_f64 v[26:27], v[40:41], s[6:7]
	v_add_f64 v[6:7], v[10:11], v[6:7]
	v_fma_f64 v[10:11], v[198:199], s[6:7], v[206:207]
	v_add_f64 v[20:21], v[22:23], v[20:21]
	v_fma_f64 v[22:23], v[196:197], s[18:19], v[204:205]
	;; [unrolled: 2-line block ×6, first 2 shown]
	v_fma_f64 v[26:27], v[194:195], s[18:19], -v[26:27]
	v_add_f64 v[22:23], v[22:23], v[28:29]
	v_mul_f64 v[28:29], v[38:39], s[18:19]
	v_add_f64 v[26:27], v[26:27], v[42:43]
	v_fma_f64 v[24:25], v[188:189], s[38:39], v[28:29]
	v_fma_f64 v[28:29], v[188:189], s[6:7], v[28:29]
	v_add_f64 v[24:25], v[24:25], v[130:131]
	v_mul_f64 v[130:131], v[36:37], s[36:37]
	v_add_f64 v[28:29], v[28:29], v[132:133]
	v_fma_f64 v[180:181], v[200:201], s[12:13], v[130:131]
	v_fma_f64 v[42:43], v[200:201], s[12:13], -v[130:131]
	v_add_f64 v[22:23], v[180:181], v[22:23]
	v_mul_f64 v[180:181], v[34:35], s[12:13]
	v_add_f64 v[26:27], v[42:43], v[26:27]
	v_fma_f64 v[182:183], v[192:193], s[2:3], v[180:181]
	v_fma_f64 v[42:43], v[192:193], s[36:37], v[180:181]
	v_add_f64 v[24:25], v[182:183], v[24:25]
	v_mul_f64 v[182:183], v[16:17], s[28:29]
	v_add_f64 v[28:29], v[42:43], v[28:29]
	v_fma_f64 v[210:211], v[196:197], s[22:23], v[182:183]
	;; [unrolled: 10-line block ×3, first 2 shown]
	v_fma_f64 v[42:43], v[0:1], s[24:25], -v[214:215]
	v_add_f64 v[22:23], v[218:219], v[22:23]
	v_mul_f64 v[218:219], v[30:31], s[24:25]
	v_add_f64 v[180:181], v[42:43], v[26:27]
	v_mul_f64 v[42:43], v[40:41], s[36:37]
	v_fma_f64 v[130:131], v[2:3], s[30:31], v[218:219]
	v_fma_f64 v[222:223], v[2:3], s[26:27], v[218:219]
	v_fma_f64 v[26:27], v[194:195], s[12:13], v[42:43]
	v_fma_f64 v[42:43], v[194:195], s[12:13], -v[42:43]
	v_add_f64 v[182:183], v[130:131], v[28:29]
	v_mul_f64 v[130:131], v[36:37], s[34:35]
	v_add_f64 v[26:27], v[26:27], v[44:45]
	v_mul_f64 v[44:45], v[38:39], s[12:13]
	v_add_f64 v[42:43], v[42:43], v[208:209]
	v_add_f64 v[24:25], v[222:223], v[24:25]
	v_fma_f64 v[132:133], v[200:201], s[20:21], v[130:131]
	v_fma_f64 v[28:29], v[188:189], s[2:3], v[44:45]
	;; [unrolled: 1-line block ×3, first 2 shown]
	v_add_f64 v[26:27], v[132:133], v[26:27]
	v_mul_f64 v[132:133], v[34:35], s[20:21]
	v_add_f64 v[28:29], v[28:29], v[134:135]
	v_add_f64 v[44:45], v[44:45], v[126:127]
	v_fma_f64 v[126:127], v[200:201], s[20:21], -v[130:131]
	v_fma_f64 v[134:135], v[192:193], s[14:15], v[132:133]
	v_add_f64 v[42:43], v[126:127], v[42:43]
	v_fma_f64 v[126:127], v[192:193], s[34:35], v[132:133]
	v_add_f64 v[28:29], v[134:135], v[28:29]
	v_mul_f64 v[134:135], v[16:17], s[26:27]
	v_add_f64 v[44:45], v[126:127], v[44:45]
	v_fma_f64 v[210:211], v[196:197], s[24:25], v[134:135]
	v_fma_f64 v[126:127], v[196:197], s[24:25], -v[134:135]
	v_add_f64 v[26:27], v[210:211], v[26:27]
	v_mul_f64 v[210:211], v[12:13], s[24:25]
	v_add_f64 v[42:43], v[126:127], v[42:43]
	v_fma_f64 v[214:215], v[198:199], s[30:31], v[210:211]
	v_fma_f64 v[126:127], v[198:199], s[26:27], v[210:211]
	v_add_f64 v[28:29], v[214:215], v[28:29]
	v_mul_f64 v[214:215], v[32:33], s[6:7]
	v_add_f64 v[44:45], v[126:127], v[44:45]
	v_fma_f64 v[218:219], v[0:1], s[18:19], v[214:215]
	v_fma_f64 v[126:127], v[0:1], s[18:19], -v[214:215]
	v_add_f64 v[26:27], v[218:219], v[26:27]
	v_mul_f64 v[218:219], v[30:31], s[18:19]
	v_add_f64 v[208:209], v[126:127], v[42:43]
	v_mul_f64 v[42:43], v[40:41], s[28:29]
	v_mul_f64 v[40:41], v[40:41], s[30:31]
	v_fma_f64 v[130:131], v[2:3], s[6:7], v[218:219]
	v_fma_f64 v[222:223], v[2:3], s[38:39], v[218:219]
	v_mul_f64 v[218:219], v[12:13], s[12:13]
	v_mul_f64 v[12:13], v[12:13], s[20:21]
	v_add_f64 v[210:211], v[130:131], v[44:45]
	v_fma_f64 v[44:45], v[194:195], s[22:23], v[42:43]
	v_mul_f64 v[130:131], v[36:37], s[26:27]
	v_add_f64 v[28:29], v[222:223], v[28:29]
	v_mul_f64 v[222:223], v[32:33], s[34:35]
	v_fma_f64 v[42:43], v[194:195], s[22:23], -v[42:43]
	v_mul_f64 v[36:37], v[36:37], s[6:7]
	v_mul_f64 v[32:33], v[32:33], s[16:17]
	v_add_f64 v[44:45], v[44:45], v[46:47]
	v_mul_f64 v[46:47], v[38:39], s[22:23]
	v_fma_f64 v[132:133], v[200:201], s[24:25], v[130:131]
	v_mul_f64 v[38:39], v[38:39], s[24:25]
	v_add_f64 v[42:43], v[42:43], v[216:217]
	v_fma_f64 v[126:127], v[188:189], s[16:17], v[46:47]
	v_add_f64 v[44:45], v[132:133], v[44:45]
	v_mul_f64 v[132:133], v[34:35], s[24:25]
	v_fma_f64 v[46:47], v[188:189], s[28:29], v[46:47]
	v_mul_f64 v[34:35], v[34:35], s[18:19]
	v_add_f64 v[126:127], v[126:127], v[212:213]
	v_fma_f64 v[134:135], v[192:193], s[30:31], v[132:133]
	v_add_f64 v[46:47], v[46:47], v[128:129]
	v_add_f64 v[126:127], v[134:135], v[126:127]
	v_mul_f64 v[134:135], v[16:17], s[2:3]
	v_mul_f64 v[16:17], v[16:17], s[34:35]
	v_fma_f64 v[212:213], v[196:197], s[12:13], v[134:135]
	v_add_f64 v[44:45], v[212:213], v[44:45]
	v_fma_f64 v[212:213], v[198:199], s[36:37], v[218:219]
	v_add_f64 v[126:127], v[212:213], v[126:127]
	;; [unrolled: 2-line block ×3, first 2 shown]
	v_mul_f64 v[44:45], v[30:31], s[20:21]
	v_mul_f64 v[30:31], v[30:31], s[22:23]
	v_fma_f64 v[214:215], v[2:3], s[14:15], v[44:45]
	v_fma_f64 v[44:45], v[2:3], s[34:35], v[44:45]
	v_add_f64 v[214:215], v[214:215], v[126:127]
	v_fma_f64 v[126:127], v[200:201], s[24:25], -v[130:131]
	v_add_f64 v[42:43], v[126:127], v[42:43]
	v_fma_f64 v[126:127], v[192:193], s[26:27], v[132:133]
	v_add_f64 v[46:47], v[126:127], v[46:47]
	v_fma_f64 v[126:127], v[196:197], s[12:13], -v[134:135]
	v_add_f64 v[42:43], v[126:127], v[42:43]
	;; [unrolled: 4-line block ×3, first 2 shown]
	v_add_f64 v[216:217], v[126:127], v[42:43]
	v_fma_f64 v[42:43], v[194:195], s[24:25], v[40:41]
	v_fma_f64 v[44:45], v[188:189], s[26:27], v[38:39]
	;; [unrolled: 1-line block ×3, first 2 shown]
	v_fma_f64 v[40:41], v[194:195], s[24:25], -v[40:41]
	v_fma_f64 v[38:39], v[188:189], s[30:31], v[38:39]
	v_fma_f64 v[36:37], v[200:201], s[18:19], -v[36:37]
	v_add_f64 v[42:43], v[42:43], v[124:125]
	v_add_f64 v[44:45], v[44:45], v[220:221]
	v_add_f64 v[40:41], v[40:41], v[224:225]
	v_add_f64 v[38:39], v[38:39], v[226:227]
	v_add_f64 v[42:43], v[46:47], v[42:43]
	v_fma_f64 v[46:47], v[192:193], s[38:39], v[34:35]
	v_fma_f64 v[34:35], v[192:193], s[6:7], v[34:35]
	v_add_f64 v[36:37], v[36:37], v[40:41]
	v_add_f64 v[44:45], v[46:47], v[44:45]
	v_fma_f64 v[46:47], v[196:197], s[20:21], v[16:17]
	v_add_f64 v[34:35], v[34:35], v[38:39]
	v_fma_f64 v[16:17], v[196:197], s[20:21], -v[16:17]
	v_add_f64 v[42:43], v[46:47], v[42:43]
	v_fma_f64 v[46:47], v[198:199], s[14:15], v[12:13]
	v_fma_f64 v[12:13], v[198:199], s[34:35], v[12:13]
	v_add_f64 v[16:17], v[16:17], v[36:37]
	v_add_f64 v[44:45], v[46:47], v[44:45]
	v_fma_f64 v[46:47], v[0:1], s[22:23], v[32:33]
	v_add_f64 v[12:13], v[12:13], v[34:35]
	v_fma_f64 v[32:33], v[0:1], s[22:23], -v[32:33]
	v_fma_f64 v[0:1], v[0:1], s[12:13], -v[228:229]
	v_add_f64 v[220:221], v[46:47], v[42:43]
	v_fma_f64 v[42:43], v[2:3], s[28:29], v[30:31]
	v_fma_f64 v[30:31], v[2:3], s[16:17], v[30:31]
	v_add_f64 v[224:225], v[32:33], v[16:17]
	v_fma_f64 v[16:17], v[192:193], s[16:17], v[202:203]
	v_fma_f64 v[2:3], v[2:3], s[2:3], v[230:231]
	v_add_f64 v[222:223], v[42:43], v[44:45]
	v_add_f64 v[226:227], v[30:31], v[12:13]
	v_fma_f64 v[12:13], v[200:201], s[22:23], -v[190:191]
	v_add_f64 v[6:7], v[16:17], v[6:7]
	v_add_f64 v[4:5], v[12:13], v[4:5]
	;; [unrolled: 1-line block ×6, first 2 shown]
	ds_write_b128 v15, v[18:21] offset:16
	ds_write_b128 v15, v[22:25] offset:32
	;; [unrolled: 1-line block ×10, first 2 shown]
	ds_write_b128 v15, v[184:187]
	s_waitcnt lgkmcnt(0)
	s_barrier
	buffer_gl0_inv
	ds_read_b128 v[184:187], v14
	ds_read_b128 v[188:191], v14 offset:2640
	ds_read_b128 v[200:203], v14 offset:19360
	;; [unrolled: 1-line block ×8, first 2 shown]
	s_and_saveexec_b32 s1, s0
	s_cbranch_execz .LBB0_11
; %bb.10:
	ds_read_b128 v[180:183], v14 offset:7920
	ds_read_b128 v[196:199], v14 offset:17600
	;; [unrolled: 1-line block ×3, first 2 shown]
.LBB0_11:
	s_or_b32 exec_lo, exec_lo, s1
	s_waitcnt lgkmcnt(2)
	v_mul_f64 v[8:9], v[70:71], v[218:219]
	v_mul_f64 v[12:13], v[66:67], v[206:207]
	s_waitcnt lgkmcnt(1)
	v_mul_f64 v[17:18], v[74:75], v[214:215]
	v_mul_f64 v[19:20], v[74:75], v[212:213]
	;; [unrolled: 3-line block ×3, first 2 shown]
	v_mul_f64 v[2:3], v[90:91], v[220:221]
	v_mul_f64 v[4:5], v[86:87], v[202:203]
	;; [unrolled: 1-line block ×9, first 2 shown]
	s_barrier
	buffer_gl0_inv
	v_mul_f64 v[27:28], v[78:79], v[178:179]
	s_mov_b32 s2, 0xe8584caa
	s_mov_b32 s3, 0xbfebb67a
	;; [unrolled: 1-line block ×3, first 2 shown]
	v_fma_f64 v[8:9], v[68:69], v[216:217], v[8:9]
	v_fma_f64 v[12:13], v[64:65], v[204:205], v[12:13]
	;; [unrolled: 1-line block ×3, first 2 shown]
	v_fma_f64 v[19:20], v[72:73], v[214:215], -v[19:20]
	v_fma_f64 v[41:42], v[60:61], v[208:209], v[21:22]
	v_fma_f64 v[43:44], v[60:61], v[210:211], -v[23:24]
	v_fma_f64 v[35:36], v[88:89], v[222:223], -v[2:3]
	v_fma_f64 v[37:38], v[84:85], v[200:201], v[4:5]
	v_fma_f64 v[39:40], v[84:85], v[202:203], -v[6:7]
	;; [unrolled: 3-line block ×4, first 2 shown]
	s_mov_b32 s6, s2
	v_fma_f64 v[0:1], v[76:77], v[176:177], v[27:28]
	v_add_f64 v[66:67], v[188:189], v[8:9]
	v_add_f64 v[25:26], v[8:9], v[12:13]
	;; [unrolled: 1-line block ×6, first 2 shown]
	v_add_f64 v[82:83], v[8:9], -v[12:13]
	v_add_f64 v[86:87], v[19:20], -v[43:44]
	v_add_f64 v[90:91], v[17:18], -v[41:42]
	v_add_f64 v[23:24], v[35:36], v[39:40]
	v_add_f64 v[64:65], v[35:36], -v[39:40]
	v_add_f64 v[35:36], v[186:187], v[35:36]
	v_add_f64 v[60:61], v[6:7], v[4:5]
	;; [unrolled: 1-line block ×5, first 2 shown]
	v_add_f64 v[33:34], v[33:34], -v[37:38]
	v_add_f64 v[68:69], v[190:191], v[10:11]
	v_add_f64 v[78:79], v[10:11], -v[15:16]
	v_add_f64 v[45:46], v[2:3], v[0:1]
	v_add_f64 v[124:125], v[6:7], -v[4:5]
	v_add_f64 v[126:127], v[2:3], -v[0:1]
	v_add_f64 v[18:19], v[66:67], v[12:13]
	buffer_load_dword v12, off, s[40:43], 0 offset:256 ; 4-byte Folded Reload
	v_fma_f64 v[80:81], v[25:26], -0.5, v[188:189]
	v_fma_f64 v[88:89], v[29:30], -0.5, v[192:193]
	;; [unrolled: 1-line block ×4, first 2 shown]
	v_add_f64 v[24:25], v[72:73], v[43:44]
	v_add_f64 v[10:11], v[35:36], v[39:40]
	v_fma_f64 v[128:129], v[60:61], -0.5, v[182:183]
	v_fma_f64 v[74:75], v[21:22], -0.5, v[184:185]
	v_add_f64 v[8:9], v[62:63], v[37:38]
	v_fma_f64 v[84:85], v[27:28], -0.5, v[190:191]
	v_add_f64 v[22:23], v[70:71], v[41:42]
	v_add_f64 v[20:21], v[68:69], v[15:16]
	v_fma_f64 v[45:46], v[45:46], -0.5, v[180:181]
	v_fma_f64 v[72:73], v[78:79], s[2:3], v[80:81]
	v_fma_f64 v[28:29], v[33:34], s[6:7], v[76:77]
	;; [unrolled: 1-line block ×16, first 2 shown]
	s_waitcnt vmcnt(0)
	ds_write_b128 v12, v[8:11]
	ds_write_b128 v12, v[26:29] offset:176
	ds_write_b128 v12, v[68:71] offset:352
	buffer_load_dword v8, off, s[40:43], 0 offset:252 ; 4-byte Folded Reload
	s_waitcnt vmcnt(0)
	ds_write_b128 v8, v[18:21]
	ds_write_b128 v8, v[72:75] offset:176
	ds_write_b128 v8, v[76:79] offset:352
	buffer_load_dword v8, off, s[40:43], 0 offset:248 ; 4-byte Folded Reload
	s_waitcnt vmcnt(0)
	ds_write_b128 v8, v[22:25]
	ds_write_b128 v8, v[80:83] offset:176
	ds_write_b128 v8, v[84:87] offset:352
	s_and_saveexec_b32 s1, s0
	s_cbranch_execz .LBB0_13
; %bb.12:
	v_add_f64 v[6:7], v[182:183], v[6:7]
	v_add_f64 v[8:9], v[180:181], v[2:3]
	;; [unrolled: 1-line block ×3, first 2 shown]
	s_clause 0x1
	buffer_load_dword v4, off, s[40:43], 0 offset:240
	buffer_load_dword v5, off, s[40:43], 0 offset:244
	v_add_f64 v[0:1], v[8:9], v[0:1]
	s_waitcnt vmcnt(0)
	v_mad_u16 v4, v4, 33, v5
	v_mov_b32_e32 v5, 4
	v_lshlrev_b32_sdwa v4, v5, v4 dst_sel:DWORD dst_unused:UNUSED_PAD src0_sel:DWORD src1_sel:WORD_0
	ds_write_b128 v4, v[60:63] offset:176
	ds_write_b128 v4, v[0:3]
	ds_write_b128 v4, v[64:67] offset:352
.LBB0_13:
	s_or_b32 exec_lo, exec_lo, s1
	s_waitcnt lgkmcnt(0)
	s_barrier
	buffer_gl0_inv
	ds_read_b128 v[72:75], v14
	ds_read_b128 v[68:71], v14 offset:2640
	ds_read_b128 v[180:183], v14 offset:5808
	;; [unrolled: 1-line block ×9, first 2 shown]
	s_and_saveexec_b32 s0, vcc_lo
	s_cbranch_execz .LBB0_15
; %bb.14:
	ds_read_b128 v[60:63], v14 offset:5280
	ds_read_b128 v[64:67], v14 offset:11088
	;; [unrolled: 1-line block ×3, first 2 shown]
	s_waitcnt lgkmcnt(0)
	buffer_store_dword v0, off, s[40:43], 0 offset:16 ; 4-byte Folded Spill
	buffer_store_dword v1, off, s[40:43], 0 offset:20 ; 4-byte Folded Spill
	;; [unrolled: 1-line block ×4, first 2 shown]
	ds_read_b128 v[0:3], v14 offset:22704
	s_waitcnt lgkmcnt(0)
	buffer_store_dword v0, off, s[40:43], 0 offset:32 ; 4-byte Folded Spill
	buffer_store_dword v1, off, s[40:43], 0 offset:36 ; 4-byte Folded Spill
	buffer_store_dword v2, off, s[40:43], 0 offset:40 ; 4-byte Folded Spill
	buffer_store_dword v3, off, s[40:43], 0 offset:44 ; 4-byte Folded Spill
	ds_read_b128 v[0:3], v14 offset:28512
	s_waitcnt lgkmcnt(0)
	buffer_store_dword v0, off, s[40:43], 0 ; 4-byte Folded Spill
	buffer_store_dword v1, off, s[40:43], 0 offset:4 ; 4-byte Folded Spill
	buffer_store_dword v2, off, s[40:43], 0 offset:8 ; 4-byte Folded Spill
	;; [unrolled: 1-line block ×3, first 2 shown]
.LBB0_15:
	s_or_b32 exec_lo, exec_lo, s0
	s_waitcnt lgkmcnt(7)
	v_mul_f64 v[0:1], v[94:95], v[182:183]
	v_mul_f64 v[2:3], v[94:95], v[180:181]
	s_waitcnt lgkmcnt(5)
	v_mul_f64 v[6:7], v[98:99], v[184:185]
	s_waitcnt lgkmcnt(1)
	v_mul_f64 v[10:11], v[106:107], v[188:189]
	v_mul_f64 v[15:16], v[102:103], v[176:177]
	;; [unrolled: 1-line block ×10, first 2 shown]
	s_waitcnt lgkmcnt(0)
	v_mul_f64 v[27:28], v[122:123], v[90:91]
	v_mul_f64 v[29:30], v[118:119], v[84:85]
	;; [unrolled: 1-line block ×3, first 2 shown]
	s_mov_b32 s2, 0x134454ff
	s_mov_b32 s3, 0xbfee6f0e
	;; [unrolled: 1-line block ×6, first 2 shown]
	v_fma_f64 v[0:1], v[92:93], v[180:181], v[0:1]
	v_fma_f64 v[2:3], v[92:93], v[182:183], -v[2:3]
	v_fma_f64 v[6:7], v[96:97], v[186:187], -v[6:7]
	;; [unrolled: 1-line block ×4, first 2 shown]
	v_fma_f64 v[4:5], v[96:97], v[184:185], v[4:5]
	v_fma_f64 v[8:9], v[100:101], v[176:177], v[8:9]
	;; [unrolled: 1-line block ×6, first 2 shown]
	v_fma_f64 v[23:24], v[108:109], v[78:79], -v[23:24]
	s_mov_b32 s7, 0x3fe2cf23
	v_fma_f64 v[27:28], v[120:121], v[88:89], v[27:28]
	s_mov_b32 s6, s0
	v_fma_f64 v[25:26], v[112:113], v[82:83], -v[25:26]
	v_fma_f64 v[31:32], v[120:121], v[90:91], -v[31:32]
	s_waitcnt_vscnt null, 0x0
	s_barrier
	buffer_gl0_inv
	v_fma_f64 v[29:30], v[116:117], v[86:87], -v[29:30]
	s_mov_b32 s14, 0x372fe950
	v_add_f64 v[33:34], v[72:73], v[0:1]
	v_add_f64 v[84:85], v[74:75], v[2:3]
	v_add_f64 v[90:91], v[2:3], -v[6:7]
	v_add_f64 v[80:81], v[2:3], v[10:11]
	v_add_f64 v[45:46], v[6:7], v[15:16]
	v_add_f64 v[43:44], v[0:1], -v[4:5]
	v_add_f64 v[35:36], v[4:5], v[8:9]
	v_add_f64 v[76:77], v[12:13], -v[8:9]
	v_add_f64 v[78:79], v[4:5], -v[0:1]
	;; [unrolled: 1-line block ×3, first 2 shown]
	v_add_f64 v[39:40], v[0:1], v[12:13]
	v_add_f64 v[0:1], v[0:1], -v[12:13]
	v_add_f64 v[37:38], v[2:3], -v[10:11]
	;; [unrolled: 1-line block ×5, first 2 shown]
	v_add_f64 v[86:87], v[19:20], v[21:22]
	v_add_f64 v[92:93], v[17:18], v[27:28]
	;; [unrolled: 1-line block ×3, first 2 shown]
	v_add_f64 v[94:95], v[10:11], -v[15:16]
	v_add_f64 v[96:97], v[25:26], v[29:30]
	v_add_f64 v[102:103], v[68:69], v[17:18]
	;; [unrolled: 1-line block ×5, first 2 shown]
	v_add_f64 v[98:99], v[15:16], -v[10:11]
	v_fma_f64 v[45:46], v[45:46], -0.5, v[74:75]
	v_fma_f64 v[74:75], v[80:81], -0.5, v[74:75]
	;; [unrolled: 1-line block ×3, first 2 shown]
	v_add_f64 v[43:44], v[43:44], v[76:77]
	v_add_f64 v[104:105], v[23:24], -v[31:32]
	v_add_f64 v[114:115], v[19:20], -v[21:22]
	v_fma_f64 v[39:40], v[39:40], -0.5, v[72:73]
	v_add_f64 v[72:73], v[25:26], -v[29:30]
	v_add_f64 v[106:107], v[17:18], -v[19:20]
	;; [unrolled: 1-line block ×5, first 2 shown]
	v_fma_f64 v[86:87], v[86:87], -0.5, v[68:69]
	v_fma_f64 v[68:69], v[92:93], -0.5, v[68:69]
	v_add_f64 v[23:24], v[25:26], -v[23:24]
	v_add_f64 v[78:79], v[78:79], v[82:83]
	v_fma_f64 v[92:93], v[96:97], -0.5, v[70:71]
	v_fma_f64 v[70:71], v[100:101], -0.5, v[70:71]
	v_add_f64 v[4:5], v[4:5], v[8:9]
	v_add_f64 v[6:7], v[6:7], v[15:16]
	;; [unrolled: 1-line block ×4, first 2 shown]
	v_fma_f64 v[84:85], v[0:1], s[12:13], v[45:46]
	v_fma_f64 v[76:77], v[88:89], s[2:3], v[74:75]
	;; [unrolled: 1-line block ×8, first 2 shown]
	v_add_f64 v[96:97], v[29:30], -v[31:32]
	s_mov_b32 s15, 0x3fd3c6ef
	v_add_f64 v[108:109], v[27:28], -v[21:22]
	v_add_f64 v[80:81], v[21:22], -v[27:28]
	v_fma_f64 v[82:83], v[104:105], s[2:3], v[86:87]
	v_fma_f64 v[86:87], v[104:105], s[12:13], v[86:87]
	;; [unrolled: 1-line block ×8, first 2 shown]
	v_add_f64 v[33:34], v[31:32], -v[29:30]
	v_add_f64 v[29:30], v[25:26], v[29:30]
	v_fma_f64 v[15:16], v[88:89], s[6:7], v[84:85]
	v_fma_f64 v[76:77], v[0:1], s[6:7], v[76:77]
	;; [unrolled: 1-line block ×3, first 2 shown]
	v_add_f64 v[0:1], v[4:5], v[12:13]
	buffer_load_dword v12, off, s[40:43], 0 offset:260 ; 4-byte Folded Reload
	v_fma_f64 v[100:101], v[41:42], s[0:1], v[100:101]
	v_fma_f64 v[35:36], v[41:42], s[6:7], v[35:36]
	v_fma_f64 v[41:42], v[37:38], s[0:1], v[118:119]
	v_fma_f64 v[37:38], v[37:38], s[6:7], v[39:40]
	v_add_f64 v[39:40], v[90:91], v[94:95]
	v_add_f64 v[84:85], v[2:3], v[98:99]
	v_fma_f64 v[45:46], v[88:89], s[0:1], v[45:46]
	v_add_f64 v[2:3], v[6:7], v[10:11]
	v_add_f64 v[88:89], v[19:20], v[21:22]
	v_fma_f64 v[82:83], v[72:73], s[0:1], v[82:83]
	v_fma_f64 v[72:73], v[72:73], s[6:7], v[86:87]
	;; [unrolled: 1-line block ×6, first 2 shown]
	v_add_f64 v[96:97], v[23:24], v[96:97]
	v_add_f64 v[90:91], v[106:107], v[108:109]
	v_fma_f64 v[98:99], v[114:115], s[6:7], v[68:69]
	v_add_f64 v[33:34], v[116:117], v[33:34]
	v_add_f64 v[80:81], v[110:111], v[80:81]
	v_fma_f64 v[92:93], v[114:115], s[0:1], v[92:93]
	v_fma_f64 v[4:5], v[43:44], s[14:15], v[100:101]
	;; [unrolled: 1-line block ×9, first 2 shown]
	v_add_f64 v[26:27], v[88:89], v[27:28]
	v_add_f64 v[28:29], v[29:30], v[31:32]
	s_waitcnt vmcnt(0)
	ds_write_b128 v12, v[0:3]
	ds_write_b128 v12, v[4:7] offset:528
	ds_write_b128 v12, v[18:21] offset:1056
	;; [unrolled: 1-line block ×4, first 2 shown]
	buffer_load_dword v0, off, s[40:43], 0 offset:264 ; 4-byte Folded Reload
	v_fma_f64 v[68:69], v[90:91], s[14:15], v[82:83]
	v_fma_f64 v[70:71], v[33:34], s[14:15], v[98:99]
	;; [unrolled: 1-line block ×8, first 2 shown]
	s_waitcnt vmcnt(0)
	ds_write_b128 v0, v[26:29]
	ds_write_b128 v0, v[68:71] offset:528
	ds_write_b128 v0, v[76:79] offset:1056
	ds_write_b128 v0, v[80:83] offset:1584
	ds_write_b128 v0, v[72:75] offset:2112
	s_and_saveexec_b32 s16, vcc_lo
	s_cbranch_execz .LBB0_17
; %bb.16:
	s_clause 0xf
	buffer_load_dword v25, off, s[40:43], 0 offset:16
	buffer_load_dword v26, off, s[40:43], 0 offset:20
	;; [unrolled: 1-line block ×8, first 2 shown]
	buffer_load_dword v21, off, s[40:43], 0
	buffer_load_dword v22, off, s[40:43], 0 offset:4
	buffer_load_dword v23, off, s[40:43], 0 offset:8
	;; [unrolled: 1-line block ×7, first 2 shown]
	s_waitcnt vmcnt(14)
	v_mul_f64 v[0:1], v[50:51], v[25:26]
	s_waitcnt vmcnt(8)
	v_mul_f64 v[2:3], v[19:20], v[64:65]
	;; [unrolled: 2-line block ×4, first 2 shown]
	v_mul_f64 v[8:9], v[50:51], v[27:28]
	s_waitcnt vmcnt(0)
	v_mul_f64 v[10:11], v[54:55], v[31:32]
	v_mul_f64 v[12:13], v[19:20], v[66:67]
	;; [unrolled: 1-line block ×3, first 2 shown]
	v_fma_f64 v[0:1], v[48:49], v[27:28], -v[0:1]
	v_fma_f64 v[2:3], v[17:18], v[66:67], -v[2:3]
	;; [unrolled: 1-line block ×4, first 2 shown]
	v_fma_f64 v[8:9], v[48:49], v[25:26], v[8:9]
	v_fma_f64 v[10:11], v[52:53], v[29:30], v[10:11]
	;; [unrolled: 1-line block ×4, first 2 shown]
	v_add_f64 v[29:30], v[62:63], v[2:3]
	v_add_f64 v[17:18], v[2:3], v[4:5]
	;; [unrolled: 1-line block ×3, first 2 shown]
	v_add_f64 v[33:34], v[2:3], -v[4:5]
	v_add_f64 v[21:22], v[8:9], v[10:11]
	v_add_f64 v[25:26], v[8:9], -v[10:11]
	v_add_f64 v[27:28], v[12:13], -v[15:16]
	v_add_f64 v[31:32], v[60:61], v[12:13]
	v_add_f64 v[23:24], v[12:13], v[15:16]
	v_add_f64 v[35:36], v[0:1], -v[6:7]
	v_add_f64 v[37:38], v[0:1], -v[2:3]
	;; [unrolled: 1-line block ×9, first 2 shown]
	v_add_f64 v[0:1], v[29:30], v[0:1]
	v_fma_f64 v[17:18], v[17:18], -0.5, v[62:63]
	v_fma_f64 v[19:20], v[19:20], -0.5, v[62:63]
	;; [unrolled: 1-line block ×3, first 2 shown]
	v_add_f64 v[8:9], v[31:32], v[8:9]
	v_fma_f64 v[23:24], v[23:24], -0.5, v[60:61]
	v_add_f64 v[37:38], v[37:38], v[39:40]
	v_add_f64 v[39:40], v[2:3], v[41:42]
	;; [unrolled: 1-line block ×5, first 2 shown]
	v_fma_f64 v[29:30], v[25:26], s[12:13], v[17:18]
	v_fma_f64 v[17:18], v[25:26], s[2:3], v[17:18]
	;; [unrolled: 1-line block ×6, first 2 shown]
	v_add_f64 v[6:7], v[8:9], v[10:11]
	v_fma_f64 v[51:52], v[35:36], s[12:13], v[23:24]
	v_fma_f64 v[23:24], v[35:36], s[2:3], v[23:24]
	v_add_f64 v[2:3], v[0:1], v[4:5]
	v_fma_f64 v[8:9], v[27:28], s[0:1], v[29:30]
	v_fma_f64 v[10:11], v[27:28], s[6:7], v[17:18]
	;; [unrolled: 1-line block ×6, first 2 shown]
	v_add_f64 v[0:1], v[6:7], v[15:16]
	v_fma_f64 v[27:28], v[33:34], s[0:1], v[51:52]
	v_fma_f64 v[23:24], v[33:34], s[6:7], v[23:24]
	v_fma_f64 v[6:7], v[37:38], s[14:15], v[8:9]
	v_fma_f64 v[10:11], v[37:38], s[14:15], v[10:11]
	v_fma_f64 v[17:18], v[39:40], s[14:15], v[17:18]
	v_fma_f64 v[21:22], v[39:40], s[14:15], v[19:20]
	v_fma_f64 v[19:20], v[12:13], s[14:15], v[25:26]
	v_fma_f64 v[15:16], v[12:13], s[14:15], v[29:30]
	buffer_load_dword v13, off, s[40:43], 0 offset:236 ; 4-byte Folded Reload
	v_fma_f64 v[8:9], v[41:42], s[14:15], v[27:28]
	v_fma_f64 v[4:5], v[41:42], s[14:15], v[23:24]
	v_mov_b32_e32 v12, 4
	s_waitcnt vmcnt(0)
	v_lshlrev_b32_sdwa v12, v12, v13 dst_sel:DWORD dst_unused:UNUSED_PAD src0_sel:DWORD src1_sel:WORD_0
	ds_write_b128 v12, v[0:3] offset:26400
	ds_write_b128 v12, v[19:22] offset:26928
	;; [unrolled: 1-line block ×5, first 2 shown]
.LBB0_17:
	s_or_b32 exec_lo, exec_lo, s16
	s_waitcnt lgkmcnt(0)
	s_barrier
	buffer_gl0_inv
	ds_read_b128 v[0:3], v14 offset:2640
	ds_read_b128 v[44:47], v14
	ds_read_b128 v[4:7], v14 offset:5280
	ds_read_b128 v[8:11], v14 offset:7920
	;; [unrolled: 1-line block ×9, first 2 shown]
	s_mov_b32 s2, 0xf8bb580b
	s_mov_b32 s6, 0x8764f0ba
	;; [unrolled: 1-line block ×9, first 2 shown]
	s_waitcnt lgkmcnt(10)
	v_mul_f64 v[12:13], v[154:155], v[2:3]
	v_mul_f64 v[31:32], v[154:155], v[0:1]
	s_waitcnt lgkmcnt(8)
	v_mul_f64 v[35:36], v[150:151], v[6:7]
	v_mul_f64 v[37:38], v[150:151], v[4:5]
	;; [unrolled: 3-line block ×6, first 2 shown]
	v_mul_f64 v[41:42], v[166:167], v[52:53]
	v_mul_f64 v[76:77], v[158:159], v[25:26]
	;; [unrolled: 1-line block ×5, first 2 shown]
	s_mov_b32 s20, 0x640f44db
	s_mov_b32 s19, 0xbfefac9e
	;; [unrolled: 1-line block ×5, first 2 shown]
	v_fma_f64 v[12:13], v[152:153], v[0:1], v[12:13]
	v_fma_f64 v[31:32], v[152:153], v[2:3], -v[31:32]
	v_fma_f64 v[4:5], v[148:149], v[4:5], v[35:36]
	v_fma_f64 v[6:7], v[148:149], v[6:7], -v[37:38]
	v_mul_f64 v[2:3], v[174:175], v[58:59]
	v_fma_f64 v[8:9], v[140:141], v[8:9], v[60:61]
	v_fma_f64 v[10:11], v[140:141], v[10:11], -v[62:63]
	v_fma_f64 v[15:16], v[136:137], v[15:16], v[68:69]
	v_fma_f64 v[48:49], v[168:169], v[48:49], v[64:65]
	v_fma_f64 v[50:51], v[168:169], v[50:51], -v[66:67]
	v_fma_f64 v[0:1], v[172:173], v[58:59], -v[33:34]
	v_mul_f64 v[33:34], v[146:147], v[21:22]
	v_mul_f64 v[58:59], v[146:147], v[19:20]
	v_fma_f64 v[17:18], v[136:137], v[17:18], -v[70:71]
	v_fma_f64 v[39:40], v[164:165], v[52:53], v[39:40]
	v_fma_f64 v[41:42], v[164:165], v[54:55], -v[41:42]
	v_fma_f64 v[23:24], v[156:157], v[23:24], v[76:77]
	v_fma_f64 v[27:28], v[160:161], v[27:28], v[72:73]
	v_fma_f64 v[29:30], v[160:161], v[29:30], -v[74:75]
	v_fma_f64 v[25:26], v[156:157], v[25:26], -v[78:79]
	s_mov_b32 s26, 0x7f775887
	s_mov_b32 s28, 0xfd768dbf
	v_add_f64 v[35:36], v[44:45], v[12:13]
	v_add_f64 v[37:38], v[46:47], v[31:32]
	s_mov_b32 s34, 0x9bcd5057
	s_mov_b32 s1, 0x3fe14ced
	v_fma_f64 v[2:3], v[172:173], v[56:57], v[2:3]
	s_mov_b32 s15, 0x3fed1bb4
	s_mov_b32 s27, 0xbfe4f49e
	;; [unrolled: 1-line block ×3, first 2 shown]
	v_add_f64 v[62:63], v[8:9], -v[48:49]
	v_add_f64 v[60:61], v[10:11], v[50:51]
	v_add_f64 v[64:65], v[10:11], -v[50:51]
	v_fma_f64 v[19:20], v[144:145], v[19:20], v[33:34]
	v_fma_f64 v[21:22], v[144:145], v[21:22], -v[58:59]
	v_add_f64 v[58:59], v[8:9], v[48:49]
	v_add_f64 v[52:53], v[31:32], -v[0:1]
	v_add_f64 v[31:32], v[31:32], v[0:1]
	v_add_f64 v[56:57], v[6:7], -v[41:42]
	s_mov_b32 s35, 0xbfeeb42a
	s_mov_b32 s0, s2
	;; [unrolled: 1-line block ×3, first 2 shown]
	v_add_f64 v[54:55], v[4:5], v[39:40]
	s_mov_b32 s25, 0x3fefac9e
	v_add_f64 v[33:34], v[35:36], v[4:5]
	v_add_f64 v[35:36], v[37:38], v[6:7]
	v_add_f64 v[6:7], v[6:7], v[41:42]
	v_add_f64 v[4:5], v[4:5], -v[39:40]
	v_add_f64 v[37:38], v[12:13], v[2:3]
	v_add_f64 v[12:13], v[12:13], -v[2:3]
	s_mov_b32 s24, s18
	s_mov_b32 s36, s28
	;; [unrolled: 1-line block ×4, first 2 shown]
	v_add_f64 v[68:69], v[17:18], v[29:30]
	v_add_f64 v[70:71], v[17:18], -v[29:30]
	v_mul_f64 v[100:101], v[64:65], s[18:19]
	v_mul_f64 v[102:103], v[60:61], s[20:21]
	;; [unrolled: 1-line block ×10, first 2 shown]
	v_add_f64 v[8:9], v[33:34], v[8:9]
	v_add_f64 v[10:11], v[35:36], v[10:11]
	v_mul_f64 v[33:34], v[52:53], s[18:19]
	v_mul_f64 v[35:36], v[31:32], s[20:21]
	;; [unrolled: 1-line block ×12, first 2 shown]
	v_fma_f64 v[114:115], v[37:38], s[6:7], v[72:73]
	v_fma_f64 v[116:117], v[12:13], s[0:1], v[74:75]
	v_fma_f64 v[72:73], v[37:38], s[6:7], -v[72:73]
	v_fma_f64 v[74:75], v[12:13], s[2:3], v[74:75]
	v_fma_f64 v[118:119], v[37:38], s[16:17], v[76:77]
	;; [unrolled: 1-line block ×5, first 2 shown]
	v_add_f64 v[8:9], v[8:9], v[15:16]
	v_add_f64 v[10:11], v[10:11], v[17:18]
	v_fma_f64 v[122:123], v[37:38], s[20:21], v[33:34]
	v_fma_f64 v[124:125], v[12:13], s[24:25], v[35:36]
	v_fma_f64 v[33:34], v[37:38], s[20:21], -v[33:34]
	v_fma_f64 v[35:36], v[12:13], s[18:19], v[35:36]
	v_mul_f64 v[104:105], v[64:65], s[36:37]
	v_mul_f64 v[106:107], v[60:61], s[34:35]
	v_fma_f64 v[76:77], v[37:38], s[16:17], -v[76:77]
	v_fma_f64 v[128:129], v[12:13], s[30:31], v[82:83]
	v_fma_f64 v[80:81], v[37:38], s[26:27], -v[80:81]
	v_fma_f64 v[82:83], v[12:13], s[22:23], v[82:83]
	v_fma_f64 v[130:131], v[37:38], s[34:35], v[52:53]
	;; [unrolled: 1-line block ×3, first 2 shown]
	v_fma_f64 v[37:38], v[37:38], s[34:35], -v[52:53]
	v_fma_f64 v[12:13], v[12:13], s[28:29], v[31:32]
	v_fma_f64 v[31:32], v[54:55], s[16:17], v[84:85]
	;; [unrolled: 1-line block ×6, first 2 shown]
	v_add_f64 v[114:115], v[44:45], v[114:115]
	v_add_f64 v[8:9], v[8:9], v[19:20]
	;; [unrolled: 1-line block ×4, first 2 shown]
	v_mul_f64 v[17:18], v[64:65], s[14:15]
	v_mul_f64 v[108:109], v[60:61], s[16:17]
	v_fma_f64 v[138:139], v[54:55], s[34:35], v[92:93]
	v_fma_f64 v[140:141], v[4:5], s[28:29], v[94:95]
	v_fma_f64 v[92:93], v[54:55], s[34:35], -v[92:93]
	v_fma_f64 v[94:95], v[4:5], s[36:37], v[94:95]
	v_add_f64 v[33:34], v[44:45], v[33:34]
	v_add_f64 v[35:36], v[46:47], v[35:36]
	v_mul_f64 v[110:111], v[64:65], s[2:3]
	v_fma_f64 v[84:85], v[54:55], s[16:17], -v[84:85]
	v_fma_f64 v[90:91], v[4:5], s[22:23], v[90:91]
	v_fma_f64 v[142:143], v[54:55], s[20:21], v[96:97]
	v_add_f64 v[78:79], v[46:47], v[78:79]
	v_mul_f64 v[112:113], v[60:61], s[6:7]
	v_fma_f64 v[88:89], v[54:55], s[26:27], -v[88:89]
	v_fma_f64 v[144:145], v[4:5], s[18:19], v[98:99]
	v_fma_f64 v[96:97], v[54:55], s[20:21], -v[96:97]
	v_fma_f64 v[98:99], v[4:5], s[24:25], v[98:99]
	v_fma_f64 v[146:147], v[54:55], s[6:7], v[56:57]
	v_add_f64 v[8:9], v[8:9], v[23:24]
	v_add_f64 v[10:11], v[10:11], v[25:26]
	v_fma_f64 v[148:149], v[4:5], s[2:3], v[6:7]
	v_fma_f64 v[54:55], v[54:55], s[6:7], -v[56:57]
	v_fma_f64 v[4:5], v[4:5], s[0:1], v[6:7]
	v_fma_f64 v[6:7], v[58:59], s[20:21], v[100:101]
	v_fma_f64 v[56:57], v[62:63], s[24:25], v[102:103]
	v_fma_f64 v[102:103], v[62:63], s[18:19], v[102:103]
	v_fma_f64 v[150:151], v[58:59], s[34:35], v[104:105]
	v_fma_f64 v[152:153], v[62:63], s[28:29], v[106:107]
	v_add_f64 v[76:77], v[44:45], v[76:77]
	v_add_f64 v[80:81], v[44:45], v[80:81]
	;; [unrolled: 1-line block ×6, first 2 shown]
	v_mul_f64 v[64:65], v[64:65], s[22:23]
	v_fma_f64 v[154:155], v[58:59], s[16:17], v[17:18]
	v_fma_f64 v[156:157], v[62:63], s[12:13], v[108:109]
	v_fma_f64 v[17:18], v[58:59], s[16:17], -v[17:18]
	v_fma_f64 v[108:109], v[62:63], s[14:15], v[108:109]
	v_add_f64 v[33:34], v[92:93], v[33:34]
	v_add_f64 v[8:9], v[8:9], v[27:28]
	;; [unrolled: 1-line block ×15, first 2 shown]
	v_mul_f64 v[60:61], v[60:61], s[26:27]
	v_add_f64 v[66:67], v[15:16], v[27:28]
	v_fma_f64 v[100:101], v[58:59], s[20:21], -v[100:101]
	v_add_f64 v[15:16], v[15:16], -v[27:28]
	v_mul_f64 v[27:28], v[70:71], s[22:23]
	v_add_f64 v[37:38], v[54:55], v[37:38]
	v_add_f64 v[4:5], v[4:5], v[12:13]
	v_add_f64 v[6:7], v[6:7], v[31:32]
	v_add_f64 v[8:9], v[8:9], v[48:49]
	v_add_f64 v[10:11], v[10:11], v[50:51]
	v_add_f64 v[29:30], v[84:85], v[29:30]
	v_add_f64 v[45:46], v[86:87], v[72:73]
	v_add_f64 v[47:48], v[134:135], v[74:75]
	v_add_f64 v[49:50], v[136:137], v[118:119]
	v_add_f64 v[72:73], v[90:91], v[78:79]
	v_mul_f64 v[31:32], v[68:69], s[26:27]
	v_add_f64 v[78:79], v[142:143], v[124:125]
	v_add_f64 v[84:85], v[144:145], v[126:127]
	v_mul_f64 v[53:54], v[68:69], s[20:21]
	v_fma_f64 v[104:105], v[58:59], s[34:35], -v[104:105]
	v_add_f64 v[12:13], v[56:57], v[43:44]
	v_fma_f64 v[106:107], v[62:63], s[36:37], v[106:107]
	v_add_f64 v[51:52], v[88:89], v[76:77]
	v_add_f64 v[80:81], v[96:97], v[80:81]
	;; [unrolled: 1-line block ×3, first 2 shown]
	v_fma_f64 v[55:56], v[58:59], s[6:7], -v[110:111]
	v_fma_f64 v[90:91], v[62:63], s[2:3], v[112:113]
	v_add_f64 v[17:18], v[17:18], v[33:34]
	v_add_f64 v[33:34], v[108:109], v[35:36]
	v_fma_f64 v[35:36], v[58:59], s[26:27], -v[64:65]
	v_add_f64 v[8:9], v[8:9], v[39:40]
	v_fma_f64 v[39:40], v[58:59], s[6:7], v[110:111]
	v_add_f64 v[10:11], v[10:11], v[41:42]
	v_fma_f64 v[41:42], v[62:63], s[0:1], v[112:113]
	v_add_f64 v[43:44], v[102:103], v[45:46]
	v_add_f64 v[45:46], v[150:151], v[47:48]
	;; [unrolled: 1-line block ×3, first 2 shown]
	v_mul_f64 v[49:50], v[70:71], s[24:25]
	v_add_f64 v[74:75], v[138:139], v[120:121]
	v_fma_f64 v[92:93], v[58:59], s[26:27], v[64:65]
	v_fma_f64 v[94:95], v[62:63], s[30:31], v[60:61]
	;; [unrolled: 1-line block ×3, first 2 shown]
	v_mul_f64 v[63:64], v[70:71], s[2:3]
	v_add_f64 v[76:77], v[140:141], v[122:123]
	v_add_f64 v[29:30], v[100:101], v[29:30]
	v_fma_f64 v[59:60], v[66:67], s[26:27], v[27:28]
	v_fma_f64 v[27:28], v[66:67], s[26:27], -v[27:28]
	v_fma_f64 v[61:62], v[15:16], s[30:31], v[31:32]
	v_fma_f64 v[31:32], v[15:16], s[22:23], v[31:32]
	;; [unrolled: 1-line block ×3, first 2 shown]
	v_add_f64 v[51:52], v[104:105], v[51:52]
	v_add_f64 v[72:73], v[106:107], v[72:73]
	;; [unrolled: 1-line block ×4, first 2 shown]
	v_mul_f64 v[78:79], v[68:69], s[6:7]
	v_add_f64 v[41:42], v[41:42], v[84:85]
	v_fma_f64 v[53:54], v[15:16], s[24:25], v[53:54]
	v_add_f64 v[80:81], v[90:91], v[82:83]
	v_mul_f64 v[82:83], v[70:71], s[28:29]
	v_fma_f64 v[84:85], v[66:67], s[20:21], v[49:50]
	v_fma_f64 v[49:50], v[66:67], s[20:21], -v[49:50]
	v_mul_f64 v[90:91], v[68:69], s[34:35]
	v_mul_f64 v[70:71], v[70:71], s[14:15]
	v_mul_f64 v[68:69], v[68:69], s[16:17]
	v_add_f64 v[35:36], v[35:36], v[37:38]
	v_add_f64 v[37:38], v[21:22], -v[25:26]
	v_add_f64 v[21:22], v[21:22], v[25:26]
	v_add_f64 v[86:87], v[146:147], v[128:129]
	;; [unrolled: 1-line block ×3, first 2 shown]
	v_fma_f64 v[25:26], v[66:67], s[6:7], v[63:64]
	v_add_f64 v[88:89], v[148:149], v[130:131]
	v_add_f64 v[76:77], v[156:157], v[76:77]
	v_add_f64 v[27:28], v[27:28], v[29:30]
	v_add_f64 v[31:32], v[31:32], v[43:44]
	v_add_f64 v[4:5], v[57:58], v[4:5]
	v_add_f64 v[6:7], v[59:60], v[6:7]
	v_fma_f64 v[29:30], v[15:16], s[0:1], v[78:79]
	v_add_f64 v[12:13], v[61:62], v[12:13]
	v_add_f64 v[60:61], v[53:54], v[72:73]
	;; [unrolled: 1-line block ×3, first 2 shown]
	v_fma_f64 v[53:54], v[66:67], s[34:35], v[82:83]
	v_add_f64 v[43:44], v[84:85], v[45:46]
	v_add_f64 v[45:46], v[96:97], v[47:48]
	v_fma_f64 v[47:48], v[66:67], s[6:7], -v[63:64]
	v_add_f64 v[49:50], v[49:50], v[51:52]
	v_fma_f64 v[51:52], v[15:16], s[2:3], v[78:79]
	v_fma_f64 v[57:58], v[15:16], s[36:37], v[90:91]
	v_fma_f64 v[62:63], v[66:67], s[34:35], -v[82:83]
	v_fma_f64 v[64:65], v[15:16], s[28:29], v[90:91]
	v_fma_f64 v[72:73], v[66:67], s[16:17], v[70:71]
	;; [unrolled: 1-line block ×3, first 2 shown]
	v_fma_f64 v[66:67], v[66:67], s[16:17], -v[70:71]
	v_fma_f64 v[15:16], v[15:16], s[14:15], v[68:69]
	v_add_f64 v[68:69], v[19:20], v[23:24]
	v_add_f64 v[19:20], v[19:20], -v[23:24]
	v_mul_f64 v[23:24], v[37:38], s[28:29]
	v_mul_f64 v[70:71], v[21:22], s[34:35]
	v_add_f64 v[86:87], v[92:93], v[86:87]
	v_add_f64 v[25:26], v[25:26], v[74:75]
	v_mul_f64 v[74:75], v[37:38], s[0:1]
	v_mul_f64 v[82:83], v[21:22], s[6:7]
	v_add_f64 v[88:89], v[94:95], v[88:89]
	v_add_f64 v[29:30], v[29:30], v[76:77]
	v_mul_f64 v[76:77], v[37:38], s[22:23]
	v_mul_f64 v[84:85], v[21:22], s[26:27]
	v_add_f64 v[47:48], v[47:48], v[17:18]
	v_mul_f64 v[17:18], v[37:38], s[14:15]
	v_mul_f64 v[90:91], v[21:22], s[16:17]
	;; [unrolled: 1-line block ×4, first 2 shown]
	v_add_f64 v[33:34], v[51:52], v[33:34]
	v_add_f64 v[41:42], v[57:58], v[41:42]
	v_add_f64 v[51:52], v[62:63], v[55:56]
	v_add_f64 v[62:63], v[64:65], v[80:81]
	v_add_f64 v[58:59], v[15:16], v[4:5]
	v_add_f64 v[39:40], v[53:54], v[39:40]
	v_add_f64 v[35:36], v[66:67], v[35:36]
	v_fma_f64 v[15:16], v[68:69], s[34:35], v[23:24]
	v_fma_f64 v[64:65], v[19:20], s[36:37], v[70:71]
	v_add_f64 v[53:54], v[72:73], v[86:87]
	v_fma_f64 v[23:24], v[68:69], s[34:35], -v[23:24]
	v_fma_f64 v[66:67], v[68:69], s[6:7], v[74:75]
	v_fma_f64 v[72:73], v[19:20], s[2:3], v[82:83]
	v_add_f64 v[55:56], v[78:79], v[88:89]
	v_fma_f64 v[74:75], v[68:69], s[6:7], -v[74:75]
	v_fma_f64 v[78:79], v[68:69], s[26:27], v[76:77]
	v_fma_f64 v[80:81], v[19:20], s[30:31], v[84:85]
	v_fma_f64 v[76:77], v[68:69], s[26:27], -v[76:77]
	v_fma_f64 v[86:87], v[68:69], s[16:17], v[17:18]
	v_fma_f64 v[88:89], v[19:20], s[12:13], v[90:91]
	;; [unrolled: 3-line block ×4, first 2 shown]
	v_fma_f64 v[84:85], v[19:20], s[22:23], v[84:85]
	v_fma_f64 v[82:83], v[19:20], s[0:1], v[82:83]
	;; [unrolled: 1-line block ×3, first 2 shown]
	v_add_f64 v[4:5], v[10:11], v[0:1]
	v_add_f64 v[6:7], v[15:16], v[6:7]
	;; [unrolled: 1-line block ×6, first 2 shown]
	s_mov_b32 s0, 0x953a4099
	v_add_f64 v[19:20], v[74:75], v[49:50]
	v_add_f64 v[23:24], v[78:79], v[25:26]
	;; [unrolled: 1-line block ×15, first 2 shown]
	ds_write_b128 v14, v[2:5]
	ds_write_b128 v14, v[6:9] offset:2640
	ds_write_b128 v14, v[15:18] offset:5280
	ds_write_b128 v14, v[23:26] offset:7920
	ds_write_b128 v14, v[44:47] offset:10560
	ds_write_b128 v14, v[52:55] offset:13200
	ds_write_b128 v14, v[56:59] offset:15840
	ds_write_b128 v14, v[48:51] offset:18480
	ds_write_b128 v14, v[27:30] offset:21120
	ds_write_b128 v14, v[19:22] offset:23760
	ds_write_b128 v14, v[10:13] offset:26400
	s_waitcnt lgkmcnt(0)
	s_barrier
	buffer_gl0_inv
	ds_read_b128 v[0:3], v14
	ds_read_b128 v[4:7], v14 offset:2640
	s_clause 0x5
	buffer_load_dword v16, off, s[40:43], 0 offset:60
	buffer_load_dword v17, off, s[40:43], 0 offset:64
	;; [unrolled: 1-line block ×6, first 2 shown]
	s_mov_b32 s1, 0x3f420dd2
	s_mul_i32 s2, s9, 0xa50
	s_mul_hi_u32 s3, s8, 0xa50
	s_add_i32 s3, s3, s2
	s_mul_i32 s2, s8, 0xa50
	s_waitcnt vmcnt(2) lgkmcnt(1)
	v_mul_f64 v[8:9], v[18:19], v[2:3]
	v_mul_f64 v[10:11], v[18:19], v[0:1]
	s_waitcnt vmcnt(1)
	v_mov_b32_e32 v15, v12
	s_waitcnt vmcnt(0)
	v_mad_u64_u32 v[12:13], null, s10, v15, 0
	v_fma_f64 v[8:9], v[16:17], v[0:1], v[8:9]
	v_fma_f64 v[10:11], v[16:17], v[2:3], -v[10:11]
	buffer_load_dword v17, off, s[40:43], 0 offset:56 ; 4-byte Folded Reload
	ds_read_b128 v[0:3], v14 offset:5280
	s_clause 0x3
	buffer_load_dword v30, off, s[40:43], 0 offset:220
	buffer_load_dword v31, off, s[40:43], 0 offset:224
	;; [unrolled: 1-line block ×4, first 2 shown]
	v_mad_u64_u32 v[15:16], null, s11, v15, v[13:14]
	v_mul_f64 v[8:9], v[8:9], s[0:1]
	v_mul_f64 v[10:11], v[10:11], s[0:1]
	s_waitcnt vmcnt(4)
	v_mad_u64_u32 v[19:20], null, s8, v17, 0
	s_waitcnt vmcnt(0) lgkmcnt(1)
	v_mul_f64 v[21:22], v[32:33], v[6:7]
	v_mul_f64 v[23:24], v[32:33], v[4:5]
	v_mov_b32_e32 v13, v20
	v_mad_u64_u32 v[25:26], null, s9, v17, v[13:14]
	v_mov_b32_e32 v13, v15
	ds_read_b128 v[15:18], v14 offset:7920
	s_clause 0x3
	buffer_load_dword v33, off, s[40:43], 0 offset:204
	buffer_load_dword v34, off, s[40:43], 0 offset:208
	;; [unrolled: 1-line block ×4, first 2 shown]
	v_lshlrev_b64 v[12:13], 4, v[12:13]
	v_mov_b32_e32 v20, v25
	v_fma_f64 v[21:22], v[30:31], v[4:5], v[21:22]
	v_fma_f64 v[23:24], v[30:31], v[6:7], -v[23:24]
	v_lshlrev_b64 v[19:20], 4, v[19:20]
	v_add_co_u32 v12, vcc_lo, s4, v12
	v_add_co_ci_u32_e32 v13, vcc_lo, s5, v13, vcc_lo
	ds_read_b128 v[4:7], v14 offset:10560
	v_add_co_u32 v12, vcc_lo, v12, v19
	v_add_co_ci_u32_e32 v13, vcc_lo, v13, v20, vcc_lo
	global_store_dwordx4 v[12:13], v[8:11], off
	s_clause 0x3
	buffer_load_dword v56, off, s[40:43], 0 offset:124
	buffer_load_dword v57, off, s[40:43], 0 offset:128
	;; [unrolled: 1-line block ×4, first 2 shown]
	ds_read_b128 v[8:11], v14 offset:13200
	v_add_co_u32 v12, vcc_lo, v12, s2
	v_add_co_ci_u32_e32 v13, vcc_lo, s3, v13, vcc_lo
	s_waitcnt vmcnt(4) lgkmcnt(3)
	v_mul_f64 v[26:27], v[35:36], v[2:3]
	v_mul_f64 v[28:29], v[35:36], v[0:1]
	v_fma_f64 v[31:32], v[33:34], v[0:1], v[26:27]
	v_fma_f64 v[33:34], v[33:34], v[2:3], -v[28:29]
	s_waitcnt vmcnt(0) lgkmcnt(2)
	v_mul_f64 v[48:49], v[58:59], v[17:18]
	v_mul_f64 v[50:51], v[58:59], v[15:16]
	;; [unrolled: 1-line block ×4, first 2 shown]
	s_clause 0x3
	buffer_load_dword v58, off, s[40:43], 0 offset:140
	buffer_load_dword v59, off, s[40:43], 0 offset:144
	;; [unrolled: 1-line block ×4, first 2 shown]
	ds_read_b128 v[19:22], v14 offset:15840
	ds_read_b128 v[23:26], v14 offset:18480
	;; [unrolled: 1-line block ×5, first 2 shown]
	s_clause 0xb
	buffer_load_dword v78, off, s[40:43], 0 offset:108
	buffer_load_dword v79, off, s[40:43], 0 offset:112
	buffer_load_dword v80, off, s[40:43], 0 offset:116
	buffer_load_dword v81, off, s[40:43], 0 offset:120
	buffer_load_dword v74, off, s[40:43], 0 offset:92
	buffer_load_dword v75, off, s[40:43], 0 offset:96
	buffer_load_dword v76, off, s[40:43], 0 offset:100
	buffer_load_dword v77, off, s[40:43], 0 offset:104
	buffer_load_dword v70, off, s[40:43], 0 offset:76
	buffer_load_dword v71, off, s[40:43], 0 offset:80
	buffer_load_dword v72, off, s[40:43], 0 offset:84
	buffer_load_dword v73, off, s[40:43], 0 offset:88
	v_mul_f64 v[40:41], v[31:32], s[0:1]
	v_mul_f64 v[42:43], v[33:34], s[0:1]
	v_fma_f64 v[14:15], v[56:57], v[15:16], v[48:49]
	v_fma_f64 v[16:17], v[56:57], v[17:18], -v[50:51]
	v_add_co_u32 v48, vcc_lo, v12, s2
	v_add_co_ci_u32_e32 v49, vcc_lo, s3, v13, vcc_lo
	s_waitcnt vmcnt(12) lgkmcnt(6)
	v_mul_f64 v[52:53], v[60:61], v[6:7]
	v_mul_f64 v[54:55], v[60:61], v[4:5]
	s_waitcnt vmcnt(8) lgkmcnt(5)
	v_mul_f64 v[31:32], v[80:81], v[10:11]
	v_mul_f64 v[33:34], v[80:81], v[8:9]
	s_clause 0x3
	buffer_load_dword v80, off, s[40:43], 0 offset:156
	buffer_load_dword v81, off, s[40:43], 0 offset:160
	buffer_load_dword v82, off, s[40:43], 0 offset:164
	buffer_load_dword v83, off, s[40:43], 0 offset:168
	s_waitcnt vmcnt(8) lgkmcnt(4)
	v_mul_f64 v[50:51], v[76:77], v[21:22]
	v_mul_f64 v[56:57], v[76:77], v[19:20]
	v_fma_f64 v[4:5], v[58:59], v[4:5], v[52:53]
	v_fma_f64 v[6:7], v[58:59], v[6:7], -v[54:55]
	s_waitcnt vmcnt(4) lgkmcnt(3)
	v_mul_f64 v[52:53], v[72:73], v[25:26]
	v_mul_f64 v[54:55], v[72:73], v[23:24]
	v_fma_f64 v[8:9], v[78:79], v[8:9], v[31:32]
	v_fma_f64 v[10:11], v[78:79], v[10:11], -v[33:34]
	v_add_co_u32 v32, vcc_lo, v48, s2
	v_add_co_ci_u32_e32 v33, vcc_lo, s3, v49, vcc_lo
	v_add_co_u32 v34, vcc_lo, v32, s2
	v_add_co_ci_u32_e32 v35, vcc_lo, s3, v33, vcc_lo
	v_mul_f64 v[4:5], v[4:5], s[0:1]
	v_mul_f64 v[6:7], v[6:7], s[0:1]
	;; [unrolled: 1-line block ×4, first 2 shown]
	s_waitcnt vmcnt(0) lgkmcnt(2)
	v_mul_f64 v[58:59], v[82:83], v[29:30]
	v_mul_f64 v[60:61], v[82:83], v[27:28]
	s_clause 0x3
	buffer_load_dword v82, off, s[40:43], 0 offset:172
	buffer_load_dword v83, off, s[40:43], 0 offset:176
	;; [unrolled: 1-line block ×4, first 2 shown]
	s_waitcnt vmcnt(0) lgkmcnt(1)
	v_mul_f64 v[62:63], v[84:85], v[38:39]
	v_mul_f64 v[64:65], v[84:85], v[36:37]
	s_clause 0x3
	buffer_load_dword v84, off, s[40:43], 0 offset:188
	buffer_load_dword v85, off, s[40:43], 0 offset:192
	;; [unrolled: 1-line block ×4, first 2 shown]
	global_store_dwordx4 v[12:13], v[0:3], off
	global_store_dwordx4 v[48:49], v[40:43], off
	v_mul_f64 v[0:1], v[14:15], s[0:1]
	v_fma_f64 v[12:13], v[74:75], v[19:20], v[50:51]
	v_fma_f64 v[14:15], v[74:75], v[21:22], -v[56:57]
	v_mul_f64 v[2:3], v[16:17], s[0:1]
	v_fma_f64 v[16:17], v[70:71], v[23:24], v[52:53]
	v_fma_f64 v[18:19], v[70:71], v[25:26], -v[54:55]
	v_fma_f64 v[20:21], v[80:81], v[27:28], v[58:59]
	v_fma_f64 v[22:23], v[80:81], v[29:30], -v[60:61]
	;; [unrolled: 2-line block ×3, first 2 shown]
	v_add_co_u32 v36, vcc_lo, v34, s2
	v_add_co_ci_u32_e32 v37, vcc_lo, s3, v35, vcc_lo
	v_mul_f64 v[12:13], v[12:13], s[0:1]
	v_add_co_u32 v38, vcc_lo, v36, s2
	v_mul_f64 v[14:15], v[14:15], s[0:1]
	v_add_co_ci_u32_e32 v39, vcc_lo, s3, v37, vcc_lo
	v_mul_f64 v[16:17], v[16:17], s[0:1]
	v_mul_f64 v[18:19], v[18:19], s[0:1]
	;; [unrolled: 1-line block ×4, first 2 shown]
	v_add_co_u32 v40, vcc_lo, v38, s2
	v_add_co_ci_u32_e32 v41, vcc_lo, s3, v39, vcc_lo
	global_store_dwordx4 v[32:33], v[0:3], off
	v_add_co_u32 v0, vcc_lo, v40, s2
	v_mul_f64 v[24:25], v[24:25], s[0:1]
	v_mul_f64 v[26:27], v[26:27], s[0:1]
	v_add_co_ci_u32_e32 v1, vcc_lo, s3, v41, vcc_lo
	v_add_co_u32 v2, vcc_lo, v0, s2
	global_store_dwordx4 v[34:35], v[4:7], off
	v_add_co_ci_u32_e32 v3, vcc_lo, s3, v1, vcc_lo
	v_add_co_u32 v4, vcc_lo, v2, s2
	global_store_dwordx4 v[36:37], v[8:11], off
	v_add_co_ci_u32_e32 v5, vcc_lo, s3, v3, vcc_lo
	s_waitcnt vmcnt(0) lgkmcnt(0)
	v_mul_f64 v[66:67], v[86:87], v[46:47]
	v_mul_f64 v[68:69], v[86:87], v[44:45]
	v_fma_f64 v[28:29], v[84:85], v[44:45], v[66:67]
	v_fma_f64 v[30:31], v[84:85], v[46:47], -v[68:69]
	v_mul_f64 v[28:29], v[28:29], s[0:1]
	v_mul_f64 v[30:31], v[30:31], s[0:1]
	global_store_dwordx4 v[38:39], v[12:15], off
	global_store_dwordx4 v[40:41], v[16:19], off
	;; [unrolled: 1-line block ×5, first 2 shown]
.LBB0_18:
	s_endpgm
	.section	.rodata,"a",@progbits
	.p2align	6, 0x0
	.amdhsa_kernel bluestein_single_fwd_len1815_dim1_dp_op_CI_CI
		.amdhsa_group_segment_fixed_size 29040
		.amdhsa_private_segment_fixed_size 288
		.amdhsa_kernarg_size 104
		.amdhsa_user_sgpr_count 6
		.amdhsa_user_sgpr_private_segment_buffer 1
		.amdhsa_user_sgpr_dispatch_ptr 0
		.amdhsa_user_sgpr_queue_ptr 0
		.amdhsa_user_sgpr_kernarg_segment_ptr 1
		.amdhsa_user_sgpr_dispatch_id 0
		.amdhsa_user_sgpr_flat_scratch_init 0
		.amdhsa_user_sgpr_private_segment_size 0
		.amdhsa_wavefront_size32 1
		.amdhsa_uses_dynamic_stack 0
		.amdhsa_system_sgpr_private_segment_wavefront_offset 1
		.amdhsa_system_sgpr_workgroup_id_x 1
		.amdhsa_system_sgpr_workgroup_id_y 0
		.amdhsa_system_sgpr_workgroup_id_z 0
		.amdhsa_system_sgpr_workgroup_info 0
		.amdhsa_system_vgpr_workitem_id 0
		.amdhsa_next_free_vgpr 256
		.amdhsa_next_free_sgpr 44
		.amdhsa_reserve_vcc 1
		.amdhsa_reserve_flat_scratch 0
		.amdhsa_float_round_mode_32 0
		.amdhsa_float_round_mode_16_64 0
		.amdhsa_float_denorm_mode_32 3
		.amdhsa_float_denorm_mode_16_64 3
		.amdhsa_dx10_clamp 1
		.amdhsa_ieee_mode 1
		.amdhsa_fp16_overflow 0
		.amdhsa_workgroup_processor_mode 1
		.amdhsa_memory_ordered 1
		.amdhsa_forward_progress 0
		.amdhsa_shared_vgpr_count 0
		.amdhsa_exception_fp_ieee_invalid_op 0
		.amdhsa_exception_fp_denorm_src 0
		.amdhsa_exception_fp_ieee_div_zero 0
		.amdhsa_exception_fp_ieee_overflow 0
		.amdhsa_exception_fp_ieee_underflow 0
		.amdhsa_exception_fp_ieee_inexact 0
		.amdhsa_exception_int_div_zero 0
	.end_amdhsa_kernel
	.text
.Lfunc_end0:
	.size	bluestein_single_fwd_len1815_dim1_dp_op_CI_CI, .Lfunc_end0-bluestein_single_fwd_len1815_dim1_dp_op_CI_CI
                                        ; -- End function
	.section	.AMDGPU.csdata,"",@progbits
; Kernel info:
; codeLenInByte = 23384
; NumSgprs: 46
; NumVgprs: 256
; ScratchSize: 288
; MemoryBound: 0
; FloatMode: 240
; IeeeMode: 1
; LDSByteSize: 29040 bytes/workgroup (compile time only)
; SGPRBlocks: 5
; VGPRBlocks: 31
; NumSGPRsForWavesPerEU: 46
; NumVGPRsForWavesPerEU: 256
; Occupancy: 4
; WaveLimiterHint : 1
; COMPUTE_PGM_RSRC2:SCRATCH_EN: 1
; COMPUTE_PGM_RSRC2:USER_SGPR: 6
; COMPUTE_PGM_RSRC2:TRAP_HANDLER: 0
; COMPUTE_PGM_RSRC2:TGID_X_EN: 1
; COMPUTE_PGM_RSRC2:TGID_Y_EN: 0
; COMPUTE_PGM_RSRC2:TGID_Z_EN: 0
; COMPUTE_PGM_RSRC2:TIDIG_COMP_CNT: 0
	.text
	.p2alignl 6, 3214868480
	.fill 48, 4, 3214868480
	.type	__hip_cuid_117021923d2b47a2,@object ; @__hip_cuid_117021923d2b47a2
	.section	.bss,"aw",@nobits
	.globl	__hip_cuid_117021923d2b47a2
__hip_cuid_117021923d2b47a2:
	.byte	0                               ; 0x0
	.size	__hip_cuid_117021923d2b47a2, 1

	.ident	"AMD clang version 19.0.0git (https://github.com/RadeonOpenCompute/llvm-project roc-6.4.0 25133 c7fe45cf4b819c5991fe208aaa96edf142730f1d)"
	.section	".note.GNU-stack","",@progbits
	.addrsig
	.addrsig_sym __hip_cuid_117021923d2b47a2
	.amdgpu_metadata
---
amdhsa.kernels:
  - .args:
      - .actual_access:  read_only
        .address_space:  global
        .offset:         0
        .size:           8
        .value_kind:     global_buffer
      - .actual_access:  read_only
        .address_space:  global
        .offset:         8
        .size:           8
        .value_kind:     global_buffer
      - .actual_access:  read_only
        .address_space:  global
        .offset:         16
        .size:           8
        .value_kind:     global_buffer
      - .actual_access:  read_only
        .address_space:  global
        .offset:         24
        .size:           8
        .value_kind:     global_buffer
      - .actual_access:  read_only
        .address_space:  global
        .offset:         32
        .size:           8
        .value_kind:     global_buffer
      - .offset:         40
        .size:           8
        .value_kind:     by_value
      - .address_space:  global
        .offset:         48
        .size:           8
        .value_kind:     global_buffer
      - .address_space:  global
        .offset:         56
        .size:           8
        .value_kind:     global_buffer
      - .address_space:  global
        .offset:         64
        .size:           8
        .value_kind:     global_buffer
      - .address_space:  global
        .offset:         72
        .size:           8
        .value_kind:     global_buffer
      - .offset:         80
        .size:           4
        .value_kind:     by_value
      - .address_space:  global
        .offset:         88
        .size:           8
        .value_kind:     global_buffer
      - .address_space:  global
        .offset:         96
        .size:           8
        .value_kind:     global_buffer
    .group_segment_fixed_size: 29040
    .kernarg_segment_align: 8
    .kernarg_segment_size: 104
    .language:       OpenCL C
    .language_version:
      - 2
      - 0
    .max_flat_workgroup_size: 165
    .name:           bluestein_single_fwd_len1815_dim1_dp_op_CI_CI
    .private_segment_fixed_size: 288
    .sgpr_count:     46
    .sgpr_spill_count: 0
    .symbol:         bluestein_single_fwd_len1815_dim1_dp_op_CI_CI.kd
    .uniform_work_group_size: 1
    .uses_dynamic_stack: false
    .vgpr_count:     256
    .vgpr_spill_count: 83
    .wavefront_size: 32
    .workgroup_processor_mode: 1
amdhsa.target:   amdgcn-amd-amdhsa--gfx1030
amdhsa.version:
  - 1
  - 2
...

	.end_amdgpu_metadata
